;; amdgpu-corpus repo=ROCm/rocFFT kind=compiled arch=gfx906 opt=O3
	.text
	.amdgcn_target "amdgcn-amd-amdhsa--gfx906"
	.amdhsa_code_object_version 6
	.protected	bluestein_single_fwd_len33_dim1_half_op_CI_CI ; -- Begin function bluestein_single_fwd_len33_dim1_half_op_CI_CI
	.globl	bluestein_single_fwd_len33_dim1_half_op_CI_CI
	.p2align	8
	.type	bluestein_single_fwd_len33_dim1_half_op_CI_CI,@function
bluestein_single_fwd_len33_dim1_half_op_CI_CI: ; @bluestein_single_fwd_len33_dim1_half_op_CI_CI
; %bb.0:
	v_mul_u32_u24_e32 v1, 0x1746, v0
	s_load_dwordx4 s[0:3], s[4:5], 0x28
	v_lshrrev_b32_e32 v3, 16, v1
	v_mad_u64_u32 v[1:2], s[6:7], s6, 23, v[3:4]
	v_mov_b32_e32 v2, 0
	s_waitcnt lgkmcnt(0)
	v_cmp_gt_u64_e32 vcc, s[0:1], v[1:2]
	s_and_saveexec_b64 s[0:1], vcc
	s_cbranch_execz .LBB0_15
; %bb.1:
	s_mov_b32 s0, 0xb21642c9
	v_mul_hi_u32 v2, v1, s0
	s_load_dwordx2 s[6:7], s[4:5], 0x0
	s_load_dwordx2 s[12:13], s[4:5], 0x38
	v_mul_lo_u16_e32 v3, 11, v3
	v_sub_u16_e32 v20, v0, v3
	v_lshrrev_b32_e32 v2, 4, v2
	v_mul_lo_u32 v2, v2, 23
	v_cmp_gt_u16_e32 vcc, 3, v20
	v_lshlrev_b32_e32 v18, 2, v20
	v_or_b32_e32 v19, 12, v20
	v_sub_u32_e32 v0, v1, v2
	v_mul_u32_u24_e32 v21, 33, v0
	v_lshlrev_b32_e32 v22, 2, v21
	v_or_b32_e32 v0, 24, v20
	s_and_saveexec_b64 s[14:15], vcc
	s_cbranch_execz .LBB0_3
; %bb.2:
	s_load_dwordx2 s[0:1], s[4:5], 0x18
	s_waitcnt lgkmcnt(0)
	s_load_dwordx4 s[8:11], s[0:1], 0x0
	s_waitcnt lgkmcnt(0)
	v_mad_u64_u32 v[2:3], s[0:1], s10, v1, 0
	v_mad_u64_u32 v[4:5], s[0:1], s8, v20, 0
	s_mul_i32 s10, s9, 24
	v_mad_u64_u32 v[6:7], s[0:1], s11, v1, v[3:4]
	v_mad_u64_u32 v[7:8], s[0:1], s9, v20, v[5:6]
	v_mov_b32_e32 v3, v6
	v_lshlrev_b64 v[2:3], 2, v[2:3]
	v_mov_b32_e32 v5, v7
	v_mov_b32_e32 v8, s3
	v_lshlrev_b64 v[4:5], 2, v[4:5]
	v_add_co_u32_e64 v10, s[0:1], s2, v2
	v_addc_co_u32_e64 v11, s[0:1], v8, v3, s[0:1]
	v_add_co_u32_e64 v2, s[0:1], v10, v4
	v_addc_co_u32_e64 v3, s[0:1], v11, v5, s[0:1]
	s_mul_i32 s0, s9, 12
	s_mul_hi_u32 s3, s8, 12
	s_add_i32 s3, s3, s0
	s_mul_i32 s2, s8, 12
	v_mov_b32_e32 v5, s3
	v_add_co_u32_e64 v4, s[0:1], s2, v2
	v_addc_co_u32_e64 v5, s[0:1], v3, v5, s[0:1]
	v_mov_b32_e32 v7, s3
	v_add_co_u32_e64 v6, s[0:1], s2, v4
	v_addc_co_u32_e64 v7, s[0:1], v5, v7, s[0:1]
	v_mad_u64_u32 v[8:9], s[0:1], s8, v19, 0
	global_load_dword v13, v[2:3], off
	global_load_dword v14, v[4:5], off
	v_mov_b32_e32 v12, s3
	v_mov_b32_e32 v2, v9
	v_mad_u64_u32 v[2:3], s[0:1], s9, v19, v[2:3]
	v_add_co_u32_e64 v3, s[0:1], s2, v6
	v_mov_b32_e32 v9, v2
	v_addc_co_u32_e64 v4, s[0:1], v7, v12, s[0:1]
	global_load_dword v12, v[6:7], off
	v_lshlrev_b64 v[5:6], 2, v[8:9]
	global_load_dword v15, v18, s[6:7]
	global_load_dword v16, v18, s[6:7] offset:12
	global_load_dword v8, v18, s[6:7] offset:24
	v_add_co_u32_e64 v5, s[0:1], v10, v5
	v_addc_co_u32_e64 v6, s[0:1], v11, v6, s[0:1]
	global_load_dword v9, v[3:4], off
	global_load_dword v17, v[5:6], off
	global_load_dword v23, v18, s[6:7] offset:36
	v_mad_u64_u32 v[2:3], s[0:1], s8, 24, v[3:4]
	v_mov_b32_e32 v5, s3
	global_load_dword v24, v18, s[6:7] offset:48
	global_load_dword v25, v18, s[6:7] offset:60
	;; [unrolled: 1-line block ×4, first 2 shown]
	v_add_u32_e32 v3, s10, v3
	v_add_co_u32_e64 v4, s[0:1], s2, v2
	v_addc_co_u32_e64 v5, s[0:1], v3, v5, s[0:1]
	v_mad_u64_u32 v[6:7], s[0:1], s8, v0, 0
	global_load_dword v28, v[2:3], off
	global_load_dword v29, v[4:5], off
	v_mov_b32_e32 v30, s3
	v_mov_b32_e32 v2, v7
	v_mad_u64_u32 v[2:3], s[0:1], s9, v0, v[2:3]
	v_add_co_u32_e64 v3, s[0:1], s2, v4
	v_addc_co_u32_e64 v4, s[0:1], v5, v30, s[0:1]
	v_mov_b32_e32 v7, v2
	v_lshlrev_b64 v[5:6], 2, v[6:7]
	global_load_dword v7, v[3:4], off
	v_add_co_u32_e64 v5, s[0:1], v10, v5
	v_addc_co_u32_e64 v6, s[0:1], v11, v6, s[0:1]
	v_mad_u64_u32 v[2:3], s[0:1], s8, 24, v[3:4]
	global_load_dword v4, v[5:6], off
	global_load_dword v10, v18, s[6:7] offset:96
	v_mov_b32_e32 v5, s3
	v_add_u32_e32 v3, s10, v3
	global_load_dword v6, v[2:3], off
	global_load_dword v11, v18, s[6:7] offset:108
	v_add_co_u32_e64 v2, s[0:1], s2, v2
	v_addc_co_u32_e64 v3, s[0:1], v3, v5, s[0:1]
	global_load_dword v5, v[2:3], off
	global_load_dword v30, v18, s[6:7] offset:120
	s_waitcnt vmcnt(21)
	v_lshrrev_b32_e32 v2, 16, v13
	s_waitcnt vmcnt(18)
	v_mul_f16_sdwa v3, v15, v13 dst_sel:DWORD dst_unused:UNUSED_PAD src0_sel:WORD_1 src1_sel:DWORD
	v_fma_f16 v3, v15, v2, -v3
	v_mul_f16_sdwa v2, v15, v2 dst_sel:DWORD dst_unused:UNUSED_PAD src0_sel:WORD_1 src1_sel:DWORD
	v_fma_f16 v2, v15, v13, v2
	v_pack_b32_f16 v2, v2, v3
	v_lshl_add_u32 v3, v20, 2, v22
	ds_write_b32 v3, v2
	v_lshrrev_b32_e32 v2, 16, v12
	s_waitcnt vmcnt(16)
	v_mul_f16_sdwa v3, v8, v12 dst_sel:DWORD dst_unused:UNUSED_PAD src0_sel:WORD_1 src1_sel:DWORD
	v_fma_f16 v3, v8, v2, -v3
	v_mul_f16_sdwa v2, v8, v2 dst_sel:DWORD dst_unused:UNUSED_PAD src0_sel:WORD_1 src1_sel:DWORD
	v_lshrrev_b32_e32 v13, 16, v14
	v_mul_f16_sdwa v15, v16, v14 dst_sel:DWORD dst_unused:UNUSED_PAD src0_sel:WORD_1 src1_sel:DWORD
	v_fma_f16 v2, v8, v12, v2
	s_waitcnt vmcnt(15)
	v_lshrrev_b32_e32 v8, 16, v9
	s_waitcnt vmcnt(13)
	v_mul_f16_sdwa v12, v23, v9 dst_sel:DWORD dst_unused:UNUSED_PAD src0_sel:WORD_1 src1_sel:DWORD
	v_fma_f16 v15, v16, v13, -v15
	v_mul_f16_sdwa v13, v16, v13 dst_sel:DWORD dst_unused:UNUSED_PAD src0_sel:WORD_1 src1_sel:DWORD
	v_fma_f16 v12, v23, v8, -v12
	v_mul_f16_sdwa v8, v23, v8 dst_sel:DWORD dst_unused:UNUSED_PAD src0_sel:WORD_1 src1_sel:DWORD
	v_fma_f16 v13, v16, v14, v13
	v_fma_f16 v8, v23, v9, v8
	v_lshrrev_b32_e32 v9, 16, v17
	s_waitcnt vmcnt(12)
	v_mul_f16_sdwa v14, v24, v17 dst_sel:DWORD dst_unused:UNUSED_PAD src0_sel:WORD_1 src1_sel:DWORD
	v_fma_f16 v14, v24, v9, -v14
	v_mul_f16_sdwa v9, v24, v9 dst_sel:DWORD dst_unused:UNUSED_PAD src0_sel:WORD_1 src1_sel:DWORD
	v_fma_f16 v9, v24, v17, v9
	v_pack_b32_f16 v13, v13, v15
	v_pack_b32_f16 v2, v2, v3
	v_add_u32_e32 v3, v22, v18
	ds_write2_b32 v3, v13, v2 offset0:3 offset1:6
	v_pack_b32_f16 v2, v8, v12
	v_pack_b32_f16 v8, v9, v14
	ds_write2_b32 v3, v2, v8 offset0:9 offset1:12
	s_waitcnt vmcnt(8)
	v_lshrrev_b32_e32 v2, 16, v28
	v_mul_f16_sdwa v9, v25, v28 dst_sel:DWORD dst_unused:UNUSED_PAD src0_sel:WORD_1 src1_sel:DWORD
	v_mul_f16_sdwa v8, v25, v2 dst_sel:DWORD dst_unused:UNUSED_PAD src0_sel:WORD_1 src1_sel:DWORD
	v_fma_f16 v2, v25, v2, -v9
	s_waitcnt vmcnt(7)
	v_lshrrev_b32_e32 v9, 16, v29
	v_mul_f16_sdwa v12, v26, v9 dst_sel:DWORD dst_unused:UNUSED_PAD src0_sel:WORD_1 src1_sel:DWORD
	v_mul_f16_sdwa v13, v26, v29 dst_sel:DWORD dst_unused:UNUSED_PAD src0_sel:WORD_1 src1_sel:DWORD
	v_fma_f16 v8, v25, v28, v8
	v_fma_f16 v12, v26, v29, v12
	v_fma_f16 v9, v26, v9, -v13
	v_pack_b32_f16 v2, v8, v2
	v_pack_b32_f16 v8, v12, v9
	ds_write2_b32 v3, v2, v8 offset0:15 offset1:18
	s_waitcnt vmcnt(6)
	v_lshrrev_b32_e32 v2, 16, v7
	v_mul_f16_sdwa v8, v27, v2 dst_sel:DWORD dst_unused:UNUSED_PAD src0_sel:WORD_1 src1_sel:DWORD
	v_fma_f16 v8, v27, v7, v8
	v_mul_f16_sdwa v7, v27, v7 dst_sel:DWORD dst_unused:UNUSED_PAD src0_sel:WORD_1 src1_sel:DWORD
	v_fma_f16 v2, v27, v2, -v7
	s_waitcnt vmcnt(5)
	v_lshrrev_b32_e32 v7, 16, v4
	v_pack_b32_f16 v2, v8, v2
	s_waitcnt vmcnt(4)
	v_mul_f16_sdwa v8, v10, v7 dst_sel:DWORD dst_unused:UNUSED_PAD src0_sel:WORD_1 src1_sel:DWORD
	v_fma_f16 v8, v10, v4, v8
	v_mul_f16_sdwa v4, v10, v4 dst_sel:DWORD dst_unused:UNUSED_PAD src0_sel:WORD_1 src1_sel:DWORD
	v_fma_f16 v4, v10, v7, -v4
	v_pack_b32_f16 v4, v8, v4
	ds_write2_b32 v3, v2, v4 offset0:21 offset1:24
	s_waitcnt vmcnt(3)
	v_lshrrev_b32_e32 v2, 16, v6
	s_waitcnt vmcnt(2)
	v_mul_f16_sdwa v4, v11, v2 dst_sel:DWORD dst_unused:UNUSED_PAD src0_sel:WORD_1 src1_sel:DWORD
	v_fma_f16 v4, v11, v6, v4
	v_mul_f16_sdwa v6, v11, v6 dst_sel:DWORD dst_unused:UNUSED_PAD src0_sel:WORD_1 src1_sel:DWORD
	v_fma_f16 v2, v11, v2, -v6
	v_pack_b32_f16 v2, v4, v2
	s_waitcnt vmcnt(1)
	v_lshrrev_b32_e32 v4, 16, v5
	s_waitcnt vmcnt(0)
	v_mul_f16_sdwa v6, v30, v4 dst_sel:DWORD dst_unused:UNUSED_PAD src0_sel:WORD_1 src1_sel:DWORD
	v_fma_f16 v6, v30, v5, v6
	v_mul_f16_sdwa v5, v30, v5 dst_sel:DWORD dst_unused:UNUSED_PAD src0_sel:WORD_1 src1_sel:DWORD
	v_fma_f16 v4, v30, v4, -v5
	v_pack_b32_f16 v4, v6, v4
	ds_write2_b32 v3, v2, v4 offset0:27 offset1:30
.LBB0_3:
	s_or_b64 exec, exec, s[14:15]
	s_load_dwordx2 s[2:3], s[4:5], 0x20
	s_load_dwordx2 s[0:1], s[4:5], 0x8
	v_mov_b32_e32 v4, 0
	s_waitcnt lgkmcnt(0)
	s_barrier
	s_waitcnt lgkmcnt(0)
                                        ; implicit-def: $vgpr7
                                        ; implicit-def: $vgpr11
                                        ; implicit-def: $vgpr16
                                        ; implicit-def: $vgpr15
                                        ; implicit-def: $vgpr8
	s_and_saveexec_b64 s[4:5], vcc
	s_cbranch_execz .LBB0_5
; %bb.4:
	v_lshl_add_u32 v2, v21, 2, v18
	ds_read2_b32 v[4:5], v2 offset1:3
	ds_read2_b32 v[14:15], v2 offset0:6 offset1:9
	ds_read2_b32 v[6:7], v2 offset0:12 offset1:15
	;; [unrolled: 1-line block ×4, first 2 shown]
	ds_read_b32 v8, v2 offset:120
.LBB0_5:
	s_or_b64 exec, exec, s[4:5]
	s_waitcnt lgkmcnt(0)
	v_pk_add_f16 v9, v5, v8 neg_lo:[0,1] neg_hi:[0,1]
	s_mov_b32 s4, 0xbb47
	v_pk_add_f16 v34, v8, v5
	s_movk_i32 s8, 0x36a6
	v_mul_f16_sdwa v33, v9, s4 dst_sel:DWORD dst_unused:UNUSED_PAD src0_sel:WORD_1 src1_sel:DWORD
	s_mov_b32 s11, 0xba0c
	v_pk_add_f16 v13, v14, v17 neg_lo:[0,1] neg_hi:[0,1]
	v_fma_f16 v2, v34, s8, v33
	s_mov_b32 s15, 0xbbeb
	s_mov_b32 s10, 0xb93d
	v_pk_add_f16 v36, v17, v14
	v_mul_f16_sdwa v35, v13, s11 dst_sel:DWORD dst_unused:UNUSED_PAD src0_sel:WORD_1 src1_sel:DWORD
	v_mul_f16_sdwa v10, v9, s15 dst_sel:DWORD dst_unused:UNUSED_PAD src0_sel:WORD_1 src1_sel:DWORD
	s_mov_b32 s5, 0xb08e
	v_fma_f16 v23, v36, s10, v35
	s_movk_i32 s14, 0x3482
	v_add_f16_e32 v2, v2, v4
	v_fma_f16 v3, v34, s5, v10
	s_mov_b32 s9, 0xbbad
	v_mul_f16_sdwa v24, v13, s14 dst_sel:DWORD dst_unused:UNUSED_PAD src0_sel:WORD_1 src1_sel:DWORD
	v_add_f16_e32 v2, v23, v2
	v_pk_add_f16 v23, v15, v16 neg_lo:[0,1] neg_hi:[0,1]
	v_fma_f16 v25, v36, s9, v24
	v_pk_add_f16 v38, v16, v15
	v_add_f16_e32 v3, v3, v4
	v_mul_f16_sdwa v37, v23, s14 dst_sel:DWORD dst_unused:UNUSED_PAD src0_sel:WORD_1 src1_sel:DWORD
	v_add_f16_e32 v3, v25, v3
	v_fma_f16 v25, v38, s9, v37
	s_movk_i32 s16, 0x3b47
	v_add_f16_e32 v2, v25, v2
	v_mul_f16_sdwa v25, v23, s16 dst_sel:DWORD dst_unused:UNUSED_PAD src0_sel:WORD_1 src1_sel:DWORD
	v_fma_f16 v26, v38, s8, v25
	v_add_f16_e32 v3, v26, v3
	v_pk_add_f16 v31, v6, v12
	v_pk_add_f16 v26, v6, v12 neg_lo:[0,1] neg_hi:[0,1]
	s_movk_i32 s17, 0x3beb
	v_lshrrev_b32_e32 v41, 16, v26
	v_mul_f16_e32 v39, 0xb08e, v31
	v_fma_f16 v27, v41, s17, v39
	v_add_f16_e32 v2, v27, v2
	s_mov_b32 s18, 0xb853
	v_mul_f16_e32 v27, 0x3abb, v31
	v_pk_add_f16 v67, v7, v11
	v_pk_add_f16 v32, v7, v11 neg_lo:[0,1] neg_hi:[0,1]
	v_fma_f16 v28, v41, s18, v27
	s_movk_i32 s19, 0x3853
	v_lshrrev_b32_e32 v43, 16, v32
	v_mul_f16_e32 v40, 0x3abb, v67
	v_add_f16_e32 v28, v28, v3
	v_fma_f16 v3, v43, s19, v40
	v_mul_f16_e32 v68, 0xb93d, v67
	v_add_f16_e32 v3, v3, v2
	v_fma_f16 v2, v43, s11, v68
	s_movk_i32 s20, 0x3abb
	v_mul_f16_sdwa v44, v9, s18 dst_sel:DWORD dst_unused:UNUSED_PAD src0_sel:WORD_1 src1_sel:DWORD
	v_add_f16_e32 v2, v2, v28
	v_fma_f16 v28, v34, s20, v44
	v_mul_f16_sdwa v42, v13, s4 dst_sel:DWORD dst_unused:UNUSED_PAD src0_sel:WORD_1 src1_sel:DWORD
	v_add_f16_e32 v28, v28, v4
	v_fma_f16 v29, v36, s8, v42
	v_lshrrev_b32_e32 v47, 16, v34
	v_mul_f16_e32 v45, 0xbb47, v9
	v_fma_f16 v10, v34, s5, -v10
	v_add_f16_e32 v28, v29, v28
	v_fma_f16 v29, v47, s8, -v45
	v_lshrrev_b32_e32 v48, 16, v36
	v_mul_f16_e32 v46, 0xba0c, v13
	v_fma_f16 v24, v36, s9, -v24
	v_add_f16_e32 v10, v10, v4
	v_add_f16_sdwa v29, v29, v4 dst_sel:DWORD dst_unused:UNUSED_PAD src0_sel:DWORD src1_sel:WORD_1
	v_fma_f16 v30, v48, s10, -v46
	v_add_f16_e32 v10, v24, v10
	v_mul_f16_e32 v24, 0xbbeb, v9
	v_add_f16_e32 v29, v30, v29
	v_fma_f16 v30, v47, s5, v24
	v_mul_f16_e32 v49, 0x3482, v13
	v_fma_f16 v24, v47, s5, -v24
	v_fma_f16 v50, v48, s9, v49
	v_fma_f16 v49, v48, s9, -v49
	v_add_f16_sdwa v24, v24, v4 dst_sel:DWORD dst_unused:UNUSED_PAD src0_sel:DWORD src1_sel:WORD_1
	v_add_f16_sdwa v30, v30, v4 dst_sel:DWORD dst_unused:UNUSED_PAD src0_sel:DWORD src1_sel:WORD_1
	v_add_f16_e32 v24, v49, v24
	v_mul_f16_sdwa v49, v9, s11 dst_sel:DWORD dst_unused:UNUSED_PAD src0_sel:WORD_1 src1_sel:DWORD
	v_add_f16_e32 v30, v50, v30
	v_fma_f16 v50, v34, s10, -v49
	v_mul_f16_sdwa v51, v13, s17 dst_sel:DWORD dst_unused:UNUSED_PAD src0_sel:WORD_1 src1_sel:DWORD
	v_add_f16_e32 v50, v50, v4
	v_fma_f16 v52, v36, s5, -v51
	v_fma_f16 v49, v34, s10, v49
	v_add_f16_e32 v52, v52, v50
	v_mul_f16_e32 v50, 0xba0c, v9
	v_fma_f16 v51, v36, s5, v51
	v_add_f16_e32 v49, v49, v4
	v_mul_f16_e32 v54, 0x3beb, v13
	v_add_f16_e32 v57, v51, v49
	v_fma_f16 v49, v47, s10, -v50
	v_fma_f16 v53, v47, s10, v50
	v_fma_f16 v50, v48, s5, -v54
	v_add_f16_sdwa v49, v49, v4 dst_sel:DWORD dst_unused:UNUSED_PAD src0_sel:DWORD src1_sel:WORD_1
	s_mov_b32 s21, 0xb482b853
	v_fma_f16 v55, v48, s5, v54
	v_add_f16_e32 v54, v50, v49
	s_mov_b32 s17, 0x3abbbbad
	v_pk_mul_f16 v50, v9, s21
	s_mov_b32 s22, 0x3853bb47
	v_add_f16_sdwa v53, v53, v4 dst_sel:DWORD dst_unused:UNUSED_PAD src0_sel:DWORD src1_sel:WORD_1
	v_pk_fma_f16 v49, v34, s17, v50 op_sel:[0,0,1] op_sel_hi:[1,1,0] neg_lo:[0,0,1] neg_hi:[0,0,1]
	s_mov_b32 s21, 0x36a63abb
	v_pk_mul_f16 v51, v13, s22
	v_add_f16_e32 v56, v55, v53
	v_pk_add_f16 v49, v49, v4
	v_pk_fma_f16 v53, v36, s21, v51 op_sel:[0,0,1] op_sel_hi:[1,1,0] neg_lo:[0,0,1] neg_hi:[0,0,1]
	v_mul_f16_e32 v9, 0xb482, v9
	v_pk_add_f16 v58, v53, v49
	v_mul_f16_e32 v13, 0x3853, v13
	v_fma_f16 v49, v47, s9, -v9
	v_add_f16_sdwa v49, v49, v4 dst_sel:DWORD dst_unused:UNUSED_PAD src0_sel:DWORD src1_sel:WORD_1
	v_fma_f16 v53, v48, s20, -v13
	v_add_f16_e32 v59, v53, v49
	v_mul_f16_sdwa v49, v23, s15 dst_sel:DWORD dst_unused:UNUSED_PAD src0_sel:WORD_1 src1_sel:DWORD
	v_fma_f16 v53, v38, s5, v49
	v_add_f16_e32 v28, v53, v28
	v_lshrrev_b32_e32 v55, 16, v38
	v_mul_f16_e32 v53, 0x3482, v23
	v_fma_f16 v25, v38, s8, -v25
	v_fma_f16 v60, v55, s9, -v53
	v_add_f16_e32 v10, v25, v10
	v_mul_f16_e32 v25, 0x3b47, v23
	v_add_f16_e32 v29, v60, v29
	v_fma_f16 v60, v55, s8, v25
	v_fma_f16 v25, v55, s8, -v25
	v_add_f16_e32 v24, v25, v24
	v_mul_f16_sdwa v25, v23, s18 dst_sel:DWORD dst_unused:UNUSED_PAD src0_sel:WORD_1 src1_sel:DWORD
	v_add_f16_e32 v30, v60, v30
	v_fma_f16 v60, v38, s20, -v25
	v_add_f16_e32 v60, v60, v52
	v_mul_f16_e32 v52, 0xb853, v23
	v_fma_f16 v61, v55, s20, v52
	s_mov_b32 s18, 0xba0cbbeb
	v_add_f16_e32 v61, v61, v56
	v_fma_f16 v52, v55, s20, -v52
	s_mov_b32 s15, 0xb08eb93d
	v_pk_mul_f16 v56, v23, s18
	v_add_f16_e32 v54, v52, v54
	v_pk_fma_f16 v52, v38, s15, v56 op_sel:[0,0,1] op_sel_hi:[1,1,0] neg_lo:[0,0,1] neg_hi:[0,0,1]
	v_mul_f16_e32 v23, 0xba0c, v23
	v_pk_add_f16 v62, v52, v58
	v_fma_f16 v52, v55, s10, -v23
	v_fma_f16 v25, v38, s20, v25
	v_add_f16_e32 v59, v52, v59
	v_mul_f16_e32 v52, 0xb93d, v31
	v_add_f16_e32 v25, v25, v57
	v_fma_f16 v57, v41, s11, v52
	v_add_f16_e32 v28, v57, v28
	v_lshrrev_b32_e32 v58, 16, v31
	v_mul_f16_e32 v57, 0x3beb, v26
	v_fma_f16 v27, v41, s19, v27
	v_fma_f16 v63, v58, s5, -v57
	v_add_f16_e32 v10, v27, v10
	v_mul_f16_e32 v27, 0xb853, v26
	v_add_f16_e32 v29, v63, v29
	v_fma_f16 v63, v58, s20, v27
	v_fma_f16 v27, v58, s20, -v27
	v_add_f16_e32 v30, v63, v30
	v_add_f16_e32 v63, v27, v24
	v_mul_f16_e32 v24, 0xbbad, v31
	v_fma_f16 v27, v41, s14, v24
	v_add_f16_e32 v69, v27, v60
	v_mul_f16_e32 v27, 0xb482, v26
	s_mov_b32 s11, 0xb482
	v_fma_f16 v60, v58, s9, v27
	v_fma_f16 v24, v41, s11, v24
	s_mov_b32 s18, 0x3b47ba0c
	v_add_f16_e32 v61, v60, v61
	v_add_f16_e32 v70, v24, v25
	v_fma_f16 v24, v58, s9, -v27
	s_mov_b32 s14, 0xb93d36a6
	v_pk_mul_f16 v60, v26, s18
	v_add_f16_e32 v65, v24, v54
	v_pk_fma_f16 v24, v31, s14, v60 op_sel:[0,0,1] op_sel_hi:[1,1,0] neg_lo:[0,0,1] neg_hi:[0,0,1]
	v_mul_f16_e32 v71, 0x3b47, v26
	v_pk_add_f16 v62, v24, v62
	v_fma_f16 v24, v58, s8, -v71
	v_mul_f16_e32 v54, 0xbbad, v67
	v_add_f16_e32 v72, v24, v59
	v_fma_f16 v24, v43, s11, v54
	v_lshrrev_b32_e32 v64, 16, v67
	v_mul_f16_e32 v59, 0x3853, v32
	v_add_f16_e32 v27, v24, v28
	v_fma_f16 v24, v64, s20, -v59
	v_mul_f16_e32 v25, 0xba0c, v32
	v_add_f16_e32 v26, v24, v29
	v_fma_f16 v24, v64, s10, v25
	v_fma_f16 v25, v64, s10, -v25
	v_mul_f16_e32 v29, 0x3b47, v32
	v_add_f16_e32 v28, v25, v63
	v_fma_f16 v25, v64, s8, v29
	v_fma_f16 v29, v64, s8, -v29
	s_mov_b32 s8, 0xbbebb482
	v_add_f16_e32 v25, v25, v61
	s_mov_b32 s10, 0xbbadb08e
	v_pk_mul_f16 v66, v32, s8
	v_pk_fma_f16 v61, v34, s17, v50 op_sel:[0,0,1] op_sel_hi:[1,1,0]
	v_add_f16_e32 v24, v24, v30
	v_pk_fma_f16 v30, v67, s10, v66 op_sel:[0,0,1] op_sel_hi:[1,1,0] neg_lo:[0,0,1] neg_hi:[0,0,1]
	v_pack_b32_f16 v13, v13, v61
	s_mov_b32 s8, 0x5040100
	v_mul_f16_e32 v61, 0x3abb, v48
	v_pk_add_f16 v30, v30, v62
	v_perm_b32 v61, v4, v61, s8
	v_fma_f16 v9, v47, s9, v9
	v_pk_mul_f16 v62, v36, s21
	s_mov_b32 s9, 0x7060302
	v_pk_add_f16 v13, v13, v61
	v_pack_b32_f16 v9, v9, v62
	v_perm_b32 v61, v51, v4, s9
	v_pk_add_f16 v9, v9, v61
	v_pk_mul_f16 v63, v38, s15
	v_pk_add_f16 v9, v9, v13
	v_pack_b32_f16 v13, v23, v63
	s_mov_b32 s9, 0xffff
	v_mul_f16_e32 v23, 0xb93d, v55
	v_bfi_b32 v23, s9, v23, v56
	v_pk_add_f16 v13, v13, v23
	v_add_f16_e32 v29, v29, v65
	v_pk_add_f16 v9, v13, v9
	v_pk_mul_f16 v65, v31, s14
	v_mul_f16_e32 v13, 0x36a6, v58
	v_bfi_b32 v13, s9, v13, v60
	v_pack_b32_f16 v23, v71, v65
	v_pk_add_f16 v13, v13, v23
	v_pk_add_f16 v9, v13, v9
	v_mul_f16_e32 v13, 0xbbeb, v32
	v_mul_f16_e32 v23, 0xb08e, v64
	v_pk_mul_f16 v61, v67, s10
	v_bfi_b32 v23, s9, v23, v66
	v_pack_b32_f16 v31, v13, v61
	v_pk_add_f16 v23, v23, v31
	v_pk_add_f16 v31, v23, v9
	v_fma_f16 v9, v64, s5, -v13
	s_movk_i32 s5, 0x3a0c
	v_mul_f16_e32 v13, 0x36a6, v67
	v_add_f16_e32 v32, v9, v72
	v_fma_f16 v9, v43, s5, v68
	v_fma_f16 v23, v43, s4, v13
	;; [unrolled: 1-line block ×3, first 2 shown]
	v_add_f16_e32 v13, v9, v10
	v_add_f16_e32 v10, v23, v69
	v_add_f16_e32 v9, v67, v70
	v_mul_lo_u16_e32 v23, 11, v20
	s_barrier
	s_and_saveexec_b64 s[4:5], vcc
	s_cbranch_execz .LBB0_7
; %bb.6:
	v_mul_f16_e32 v68, 0x36a6, v34
	v_mul_f16_e32 v69, 0x36a6, v36
	v_mul_f16_e32 v36, 0xb93d, v36
	v_sub_f16_e32 v33, v68, v33
	v_mul_f16_e32 v70, 0xb08e, v38
	v_mul_f16_e32 v38, 0xbbad, v38
	v_add_f16_e32 v33, v33, v4
	v_sub_f16_e32 v35, v36, v35
	v_mul_f16_e32 v71, 0xba0c, v41
	v_mul_f16_e32 v41, 0x3beb, v41
	v_add_f16_e32 v33, v35, v33
	;; [unrolled: 4-line block ×3, first 2 shown]
	v_sub_f16_e32 v35, v39, v41
	v_mul_f16_e32 v67, 0x3abb, v34
	v_pk_mul_f16 v34, v34, s17
	v_add_f16_e32 v33, v35, v33
	v_sub_f16_e32 v35, v40, v43
	v_alignbit_b32 v50, v50, v50, 16
	v_add_f16_e32 v33, v35, v33
	v_bfi_b32 v35, s9, v44, v34
	v_pk_add_f16 v35, v67, v35 neg_lo:[0,1] neg_hi:[0,1]
	v_pk_add_f16 v34, v50, v34
	v_pk_add_f16 v5, v5, v4
	v_alignbit_b32 v51, v51, v51, 16
	v_bfi_b32 v34, s9, v35, v34
	v_bfi_b32 v35, s9, v42, v62
	v_pk_add_f16 v5, v14, v5
	v_pk_add_f16 v35, v69, v35 neg_lo:[0,1] neg_hi:[0,1]
	v_pk_add_f16 v36, v51, v62
	v_pk_add_f16 v5, v15, v5
	v_mul_f16_e32 v47, 0x36a6, v47
	v_alignbit_b32 v56, v56, v56, 16
	v_bfi_b32 v35, s9, v35, v36
	v_bfi_b32 v36, s9, v49, v63
	v_pk_add_f16 v5, v6, v5
	v_mul_f16_e32 v48, 0xb93d, v48
	v_alignbit_b32 v60, v60, v60, 16
	v_add_f16_e32 v45, v45, v47
	v_pk_add_f16 v36, v70, v36 neg_lo:[0,1] neg_hi:[0,1]
	v_pk_add_f16 v37, v56, v63
	v_pk_add_f16 v5, v7, v5
	v_mul_f16_e32 v55, 0xbbad, v55
	v_alignbit_b32 v66, v66, v66, 16
	v_add_f16_sdwa v45, v45, v4 dst_sel:DWORD dst_unused:UNUSED_PAD src0_sel:DWORD src1_sel:WORD_1
	v_add_f16_e32 v46, v46, v48
	v_bfi_b32 v36, s9, v36, v37
	v_bfi_b32 v37, s9, v71, v60
	v_pk_add_f16 v5, v11, v5
	v_pk_add_f16 v4, v34, v4
	v_mul_f16_e32 v58, 0xb08e, v58
	v_add_f16_e32 v45, v46, v45
	v_add_f16_e32 v46, v53, v55
	v_pk_add_f16 v37, v52, v37 neg_lo:[0,1] neg_hi:[0,1]
	v_pk_add_f16 v38, v65, v60
	v_pk_add_f16 v5, v12, v5
	v_pk_add_f16 v4, v35, v4
	v_bfi_b32 v6, s9, v72, v66
	v_mul_f16_e32 v64, 0x3abb, v64
	v_add_f16_e32 v45, v46, v45
	v_add_f16_e32 v46, v58, v57
	v_bfi_b32 v37, s9, v37, v38
	v_pk_add_f16 v5, v16, v5
	v_pk_add_f16 v4, v36, v4
	v_pk_add_f16 v6, v54, v6 neg_lo:[0,1] neg_hi:[0,1]
	v_pk_add_f16 v7, v61, v66
	v_add_f16_e32 v45, v46, v45
	v_add_f16_e32 v46, v64, v59
	v_pk_add_f16 v5, v17, v5
	v_pk_add_f16 v4, v37, v4
	v_bfi_b32 v6, s9, v6, v7
	v_add_f16_e32 v45, v46, v45
	v_add_lshl_u32 v38, v21, v23, 2
	v_pk_add_f16 v5, v8, v5
	v_pk_add_f16 v4, v6, v4
	ds_write2_b32 v38, v5, v4 offset1:1
	v_pack_b32_f16 v4, v33, v45
	v_perm_b32 v5, v24, v13, s8
	ds_write2_b32 v38, v4, v5 offset0:2 offset1:3
	v_perm_b32 v4, v25, v10, s8
	ds_write_b32 v38, v4 offset:16
	v_perm_b32 v4, v31, v30, s8
	v_alignbit_b32 v5, v32, v31, 16
	ds_write2_b32 v38, v4, v5 offset0:5 offset1:6
	v_perm_b32 v4, v28, v2, s8
	v_perm_b32 v5, v29, v9, s8
	ds_write2_b32 v38, v5, v4 offset0:7 offset1:8
	v_bfi_b32 v4, s9, v27, v30
	v_perm_b32 v5, v26, v3, s8
	ds_write2_b32 v38, v5, v4 offset0:9 offset1:10
.LBB0_7:
	s_or_b64 exec, exec, s[4:5]
	v_lshlrev_b32_e32 v4, 3, v20
	s_load_dwordx4 s[8:11], s[2:3], 0x0
	s_waitcnt lgkmcnt(0)
	s_barrier
	global_load_dwordx2 v[4:5], v4, s[0:1]
	v_add_lshl_u32 v15, v21, v20, 2
	ds_read2_b32 v[7:8], v15 offset1:11
	ds_read_b32 v6, v15 offset:88
	s_movk_i32 s0, 0x3aee
	s_mov_b32 s1, 0xbaee
	v_lshl_add_u32 v14, v20, 2, v22
	s_waitcnt lgkmcnt(1)
	v_lshrrev_b32_e32 v12, 16, v8
	s_waitcnt lgkmcnt(0)
	v_lshrrev_b32_e32 v16, 16, v6
	v_lshrrev_b32_e32 v11, 16, v7
	s_waitcnt vmcnt(0)
	v_mul_f16_sdwa v17, v12, v4 dst_sel:DWORD dst_unused:UNUSED_PAD src0_sel:DWORD src1_sel:WORD_1
	v_mul_f16_sdwa v33, v8, v4 dst_sel:DWORD dst_unused:UNUSED_PAD src0_sel:DWORD src1_sel:WORD_1
	;; [unrolled: 1-line block ×4, first 2 shown]
	v_fma_f16 v8, v8, v4, -v17
	v_fma_f16 v12, v12, v4, v33
	v_fma_f16 v6, v6, v5, -v34
	v_fma_f16 v16, v16, v5, v35
	v_add_f16_e32 v17, v7, v8
	v_add_f16_e32 v33, v8, v6
	v_sub_f16_e32 v34, v12, v16
	v_add_f16_e32 v35, v11, v12
	v_add_f16_e32 v12, v12, v16
	v_sub_f16_e32 v8, v8, v6
	v_add_f16_e32 v6, v17, v6
	v_fma_f16 v17, v33, -0.5, v7
	v_fma_f16 v11, v12, -0.5, v11
	v_add_f16_e32 v16, v35, v16
	v_fma_f16 v7, v34, s0, v17
	v_fma_f16 v12, v34, s1, v17
	;; [unrolled: 1-line block ×4, first 2 shown]
	v_pack_b32_f16 v8, v6, v16
	v_pack_b32_f16 v11, v7, v17
	;; [unrolled: 1-line block ×3, first 2 shown]
	ds_write2_b32 v14, v8, v11 offset1:11
	ds_write_b32 v14, v34 offset:88
	s_waitcnt lgkmcnt(0)
	s_barrier
	s_and_saveexec_b64 s[0:1], vcc
	s_cbranch_execz .LBB0_9
; %bb.8:
	global_load_dword v8, v18, s[6:7] offset:132
	s_add_u32 s2, s6, 0x84
	s_addc_u32 s3, s7, 0
	global_load_dword v11, v18, s[2:3] offset:12
	global_load_dword v44, v18, s[2:3] offset:24
	;; [unrolled: 1-line block ×10, first 2 shown]
	ds_read2_b32 v[34:35], v14 offset1:3
	ds_read2_b32 v[36:37], v14 offset0:6 offset1:9
	ds_read2_b32 v[38:39], v14 offset0:12 offset1:15
	;; [unrolled: 1-line block ×4, first 2 shown]
	ds_read_b32 v53, v14 offset:120
	s_waitcnt lgkmcnt(5)
	v_lshrrev_b32_e32 v54, 16, v34
	v_lshrrev_b32_e32 v55, 16, v35
	s_waitcnt lgkmcnt(4)
	v_lshrrev_b32_e32 v56, 16, v36
	v_lshrrev_b32_e32 v57, 16, v37
	;; [unrolled: 3-line block ×5, first 2 shown]
	s_waitcnt lgkmcnt(0)
	v_lshrrev_b32_e32 v64, 16, v53
	s_waitcnt vmcnt(7)
	v_mul_f16_sdwa v67, v57, v45 dst_sel:DWORD dst_unused:UNUSED_PAD src0_sel:DWORD src1_sel:WORD_1
	v_mul_f16_sdwa v68, v37, v45 dst_sel:DWORD dst_unused:UNUSED_PAD src0_sel:DWORD src1_sel:WORD_1
	s_waitcnt vmcnt(6)
	v_mul_f16_sdwa v69, v58, v46 dst_sel:DWORD dst_unused:UNUSED_PAD src0_sel:DWORD src1_sel:WORD_1
	v_mul_f16_sdwa v70, v38, v46 dst_sel:DWORD dst_unused:UNUSED_PAD src0_sel:DWORD src1_sel:WORD_1
	;; [unrolled: 1-line block ×4, first 2 shown]
	v_fma_f16 v34, v34, v8, -v65
	v_fma_f16 v8, v54, v8, v66
	v_pack_b32_f16 v8, v34, v8
	v_mul_f16_sdwa v34, v55, v11 dst_sel:DWORD dst_unused:UNUSED_PAD src0_sel:DWORD src1_sel:WORD_1
	v_mul_f16_sdwa v54, v35, v11 dst_sel:DWORD dst_unused:UNUSED_PAD src0_sel:DWORD src1_sel:WORD_1
	;; [unrolled: 1-line block ×4, first 2 shown]
	s_waitcnt vmcnt(5)
	v_mul_f16_sdwa v71, v59, v47 dst_sel:DWORD dst_unused:UNUSED_PAD src0_sel:DWORD src1_sel:WORD_1
	v_mul_f16_sdwa v72, v39, v47 dst_sel:DWORD dst_unused:UNUSED_PAD src0_sel:DWORD src1_sel:WORD_1
	s_waitcnt vmcnt(4)
	v_mul_f16_sdwa v73, v60, v48 dst_sel:DWORD dst_unused:UNUSED_PAD src0_sel:DWORD src1_sel:WORD_1
	v_mul_f16_sdwa v74, v40, v48 dst_sel:DWORD dst_unused:UNUSED_PAD src0_sel:DWORD src1_sel:WORD_1
	;; [unrolled: 3-line block ×5, first 2 shown]
	v_fma_f16 v34, v35, v11, -v34
	v_fma_f16 v11, v55, v11, v54
	v_fma_f16 v35, v36, v44, -v65
	v_fma_f16 v36, v56, v44, v66
	;; [unrolled: 2-line block ×9, first 2 shown]
	v_pack_b32_f16 v11, v34, v11
	s_waitcnt vmcnt(0)
	v_mul_f16_sdwa v81, v64, v52 dst_sel:DWORD dst_unused:UNUSED_PAD src0_sel:DWORD src1_sel:WORD_1
	v_pack_b32_f16 v34, v35, v36
	v_pack_b32_f16 v35, v37, v44
	;; [unrolled: 1-line block ×8, first 2 shown]
	ds_write2_b32 v14, v8, v11 offset1:3
	ds_write2_b32 v14, v34, v35 offset0:6 offset1:9
	ds_write2_b32 v14, v36, v37 offset0:12 offset1:15
	;; [unrolled: 1-line block ×4, first 2 shown]
	v_mul_f16_sdwa v11, v53, v52 dst_sel:DWORD dst_unused:UNUSED_PAD src0_sel:DWORD src1_sel:WORD_1
	v_fma_f16 v8, v53, v52, -v81
	v_fma_f16 v11, v64, v52, v11
	v_pack_b32_f16 v8, v8, v11
	ds_write_b32 v14, v8 offset:120
.LBB0_9:
	s_or_b64 exec, exec, s[0:1]
	v_lshrrev_b32_e32 v8, 16, v31
	s_waitcnt lgkmcnt(0)
	s_barrier
	s_and_saveexec_b64 s[0:1], vcc
	s_cbranch_execz .LBB0_11
; %bb.10:
	ds_read2_b32 v[6:7], v14 offset1:3
	ds_read2_b32 v[12:13], v14 offset0:6 offset1:9
	ds_read2_b32 v[10:11], v14 offset0:12 offset1:15
	;; [unrolled: 1-line block ×4, first 2 shown]
	ds_read_b32 v27, v14 offset:120
	s_mov_b32 s2, 0xffff
	s_waitcnt lgkmcnt(5)
	v_lshrrev_b32_e32 v16, 16, v6
	v_lshrrev_b32_e32 v17, 16, v7
	s_waitcnt lgkmcnt(4)
	v_lshrrev_b32_e32 v33, 16, v12
	v_lshrrev_b32_e32 v24, 16, v13
	;; [unrolled: 3-line block ×5, first 2 shown]
	s_waitcnt lgkmcnt(0)
	v_bfi_b32 v30, s2, v11, v27
.LBB0_11:
	s_or_b64 exec, exec, s[0:1]
	s_barrier
	s_and_saveexec_b64 s[0:1], vcc
	s_cbranch_execz .LBB0_13
; %bb.12:
	v_add_f16_sdwa v11, v30, v17 dst_sel:DWORD dst_unused:UNUSED_PAD src0_sel:WORD_1 src1_sel:DWORD
	v_mul_f16_e32 v34, 0xbbad, v11
	v_sub_f16_e32 v35, v7, v27
	s_movk_i32 s16, 0x3482
	v_add_f16_e32 v37, v26, v33
	v_fma_f16 v36, v35, s16, v34
	v_mul_f16_e32 v38, 0x3abb, v37
	v_sub_f16_e32 v39, v12, v3
	s_mov_b32 s5, 0xb853
	v_add_f16_e32 v36, v16, v36
	v_fma_f16 v40, v39, s5, v38
	v_add_f16_e32 v36, v40, v36
	v_add_f16_e32 v40, v28, v24
	v_mul_f16_e32 v41, 0xb93d, v40
	v_sub_f16_e32 v42, v13, v2
	s_movk_i32 s22, 0x3a0c
	v_fma_f16 v43, v42, s22, v41
	v_sub_f16_e32 v44, v10, v9
	v_add_f16_e32 v36, v43, v36
	v_add_f16_e32 v43, v25, v29
	v_mul_f16_e32 v45, 0x3b47, v44
	s_movk_i32 s14, 0x36a6
	v_fma_f16 v46, v43, s14, -v45
	v_sub_f16_e32 v47, v30, v8
	v_add_f16_e32 v36, v46, v36
	v_add_f16_e32 v46, v31, v32
	v_mul_f16_e32 v48, 0xbbeb, v47
	s_mov_b32 s15, 0xb08e
	v_fma_f16 v49, v46, s15, -v48
	v_sub_f16_sdwa v50, v17, v30 dst_sel:DWORD dst_unused:UNUSED_PAD src0_sel:DWORD src1_sel:WORD_1
	s_mov_b32 s2, 0xbbad
	v_add_f16_e32 v36, v49, v36
	v_add_f16_e32 v49, v27, v7
	v_mul_f16_e32 v51, 0xb482, v50
	v_sub_f16_e32 v54, v33, v26
	s_movk_i32 s3, 0x3abb
	v_fma_f16 v52, v49, s2, v51
	v_add_f16_e32 v53, v3, v12
	v_mul_f16_e32 v55, 0x3853, v54
	v_add_f16_e32 v52, v6, v52
	v_fma_f16 v56, v53, s3, v55
	v_sub_f16_e32 v57, v24, v28
	s_mov_b32 s4, 0xb93d
	v_add_f16_e32 v52, v56, v52
	v_add_f16_e32 v56, v2, v13
	v_mul_f16_e32 v58, 0xba0c, v57
	v_fma_f16 v59, v56, s4, v58
	v_sub_f16_e32 v60, v25, v29
	v_add_f16_e32 v52, v59, v52
	v_add_f16_e32 v59, v10, v9
	v_mul_f16_e32 v61, 0x3b47, v60
	v_fma_f16 v62, v59, s14, v61
	v_sub_f16_e32 v63, v31, v32
	v_add_f16_e32 v52, v62, v52
	v_add_f16_e32 v62, v30, v8
	v_mul_f16_e32 v64, 0xbbeb, v63
	v_fma_f16 v65, v62, s15, v64
	v_add_f16_e32 v52, v65, v52
	v_mul_f16_e32 v65, 0xb93d, v11
	s_mov_b32 s17, 0xbbeb
	v_fma_f16 v66, v35, s22, v65
	v_mul_f16_e32 v67, 0xb08e, v37
	v_add_f16_e32 v66, v16, v66
	v_fma_f16 v68, v39, s17, v67
	s_movk_i32 s20, 0x3853
	v_add_f16_e32 v66, v68, v66
	v_mul_f16_e32 v68, 0x3abb, v40
	v_fma_f16 v69, v42, s20, v68
	v_add_f16_e32 v66, v69, v66
	v_mul_f16_e32 v69, 0xb482, v44
	v_fma_f16 v70, v43, s2, -v69
	v_add_f16_e32 v66, v70, v66
	v_mul_f16_e32 v70, 0x3b47, v47
	v_fma_f16 v71, v46, s14, -v70
	v_add_f16_e32 v66, v71, v66
	v_mul_f16_e32 v71, 0xba0c, v50
	v_fma_f16 v72, v49, s4, v71
	v_mul_f16_e32 v73, 0x3beb, v54
	v_add_f16_e32 v72, v6, v72
	v_fma_f16 v74, v53, s15, v73
	v_add_f16_e32 v72, v74, v72
	v_mul_f16_e32 v74, 0xb853, v57
	v_fma_f16 v75, v56, s3, v74
	v_add_f16_e32 v72, v75, v72
	v_mul_f16_e32 v75, 0xb482, v60
	;; [unrolled: 3-line block ×3, first 2 shown]
	v_fma_f16 v77, v62, s14, v76
	s_movk_i32 s21, 0x3beb
	v_add_f16_e32 v72, v77, v72
	v_mul_f16_e32 v77, 0xb08e, v11
	s_mov_b32 s19, 0xb482
	v_fma_f16 v78, v35, s21, v77
	v_mul_f16_e32 v79, 0xbbad, v37
	v_add_f16_e32 v78, v16, v78
	v_fma_f16 v80, v39, s19, v79
	v_add_f16_e32 v78, v80, v78
	v_mul_f16_e32 v80, 0x36a6, v40
	s_mov_b32 s18, 0xbb47
	v_add_f16_e32 v7, v7, v6
	v_fma_f16 v81, v42, s18, v80
	v_add_f16_e32 v7, v12, v7
	v_mul_f16_e32 v12, 0xb853, v44
	v_add_f16_e32 v78, v81, v78
	v_add_f16_e32 v7, v13, v7
	v_fma_f16 v13, v43, s3, -v12
	v_add_f16_e32 v13, v13, v78
	v_mul_f16_e32 v78, 0xba0c, v47
	v_add_f16_e32 v7, v10, v7
	v_fma_f16 v81, v46, s4, -v78
	v_mul_f16_e32 v10, 0xbbeb, v50
	v_add_f16_e32 v7, v30, v7
	v_add_f16_e32 v13, v81, v13
	v_fma_f16 v81, v49, s15, v10
	v_add_f16_e32 v7, v8, v7
	v_mul_f16_e32 v8, 0x3482, v54
	v_add_f16_e32 v81, v6, v81
	v_add_f16_e32 v7, v9, v7
	v_fma_f16 v9, v53, s2, v8
	v_add_f16_e32 v9, v9, v81
	v_mul_f16_e32 v81, 0x3b47, v57
	v_add_f16_e32 v2, v2, v7
	v_fma_f16 v82, v56, s14, v81
	v_add_f16_e32 v2, v3, v2
	v_mul_f16_e32 v3, 0xb853, v60
	;; [unrolled: 4-line block ×3, first 2 shown]
	v_fma_f16 v82, v62, s4, v9
	v_add_f16_e32 v7, v82, v7
	s_movk_i32 s23, 0x3b47
	v_mul_f16_e32 v82, 0x36a6, v11
	v_fma_f16 v83, v35, s23, v82
	v_mul_f16_e32 v84, 0xb93d, v37
	v_add_f16_e32 v83, v16, v83
	v_fma_f16 v85, v39, s22, v84
	v_add_f16_e32 v83, v85, v83
	v_mul_f16_e32 v85, 0xbbad, v40
	v_fma_f16 v86, v42, s19, v85
	v_fma_f16 v10, v49, s15, -v10
	v_add_f16_e32 v83, v86, v83
	v_mul_f16_e32 v86, 0x3beb, v44
	v_add_f16_e32 v17, v17, v16
	v_add_f16_e32 v10, v6, v10
	v_fma_f16 v8, v53, s2, -v8
	v_fma_f16 v87, v43, s15, -v86
	v_add_f16_e32 v17, v33, v17
	v_add_f16_e32 v8, v8, v10
	v_fma_f16 v10, v56, s14, -v81
	v_add_f16_e32 v83, v87, v83
	v_mul_f16_e32 v87, 0x3853, v47
	v_add_f16_e32 v17, v24, v17
	v_fma_f16 v24, v35, s19, v34
	v_add_f16_e32 v8, v10, v8
	v_fma_f16 v3, v59, s3, -v3
	v_fma_f16 v88, v46, s3, -v87
	v_add_f16_e32 v17, v25, v17
	v_add_f16_e32 v24, v16, v24
	v_fma_f16 v25, v39, s20, v38
	s_mov_b32 s19, 0xba0c
	v_add_f16_e32 v3, v3, v8
	v_fma_f16 v8, v62, s4, -v9
	v_add_f16_e32 v83, v88, v83
	v_mul_f16_e32 v88, 0xbb47, v50
	v_add_f16_e32 v17, v31, v17
	v_add_f16_e32 v24, v25, v24
	v_fma_f16 v25, v42, s19, v41
	v_add_f16_e32 v3, v8, v3
	v_fma_f16 v8, v35, s18, v82
	v_fma_f16 v89, v49, s14, v88
	v_mul_f16_e32 v90, 0xba0c, v54
	v_add_f16_e32 v17, v32, v17
	v_add_f16_e32 v24, v25, v24
	v_fma_f16 v25, v43, s14, v45
	v_add_f16_e32 v8, v16, v8
	v_fma_f16 v9, v39, s19, v84
	;; [unrolled: 2-line block ×3, first 2 shown]
	v_add_f16_e32 v17, v29, v17
	v_add_f16_e32 v24, v25, v24
	v_fma_f16 v25, v46, s15, v48
	v_add_f16_e32 v8, v9, v8
	v_fma_f16 v9, v42, s16, v85
	v_add_f16_e32 v89, v91, v89
	v_mul_f16_e32 v91, 0x3482, v57
	v_add_f16_e32 v17, v28, v17
	v_add_f16_e32 v24, v25, v24
	v_fma_f16 v25, v49, s2, -v51
	v_add_f16_e32 v8, v9, v8
	v_fma_f16 v9, v43, s15, v86
	v_fma_f16 v92, v56, s2, v91
	v_add_f16_e32 v17, v26, v17
	v_add_f16_e32 v25, v6, v25
	v_fma_f16 v26, v53, s3, -v55
	v_add_f16_e32 v8, v9, v8
	v_fma_f16 v9, v46, s3, v87
	v_add_f16_e32 v89, v92, v89
	v_mul_f16_e32 v92, 0x3beb, v60
	v_add_f16_e32 v25, v26, v25
	v_fma_f16 v26, v56, s4, -v58
	v_add_f16_e32 v8, v9, v8
	v_fma_f16 v9, v49, s14, -v88
	v_fma_f16 v93, v59, s15, v92
	v_add_f16_e32 v25, v26, v25
	v_fma_f16 v26, v59, s14, -v61
	v_add_f16_e32 v9, v6, v9
	v_fma_f16 v10, v53, s4, -v90
	v_add_f16_e32 v89, v93, v89
	v_mul_f16_e32 v93, 0x3853, v63
	v_add_f16_e32 v25, v26, v25
	v_fma_f16 v26, v62, s15, -v64
	v_add_f16_e32 v9, v10, v9
	v_fma_f16 v10, v56, s2, -v91
	v_fma_f16 v94, v62, s3, v93
	v_mul_f16_e32 v11, 0x3abb, v11
	v_add_f16_e32 v25, v26, v25
	v_fma_f16 v26, v35, s19, v65
	v_add_f16_e32 v9, v10, v9
	v_fma_f16 v10, v59, s15, -v92
	v_add_f16_e32 v89, v94, v89
	v_fma_f16 v94, v35, s20, v11
	v_mul_f16_e32 v37, 0x36a6, v37
	v_add_f16_e32 v2, v27, v2
	v_add_f16_e32 v26, v16, v26
	v_fma_f16 v27, v39, s21, v67
	v_add_f16_e32 v9, v10, v9
	v_fma_f16 v10, v62, s3, -v93
	v_add_f16_e32 v94, v16, v94
	v_fma_f16 v95, v39, s23, v37
	v_mul_f16_e32 v40, 0xb08e, v40
	v_add_f16_e32 v26, v27, v26
	v_fma_f16 v27, v42, s5, v68
	v_add_f16_e32 v9, v10, v9
	v_fma_f16 v10, v35, s5, v11
	;; [unrolled: 2-line block ×3, first 2 shown]
	v_mul_f16_e32 v44, 0xba0c, v44
	v_add_f16_e32 v26, v27, v26
	v_fma_f16 v27, v43, s2, v69
	v_add_f16_e32 v10, v16, v10
	v_fma_f16 v11, v39, s18, v37
	v_add_f16_e32 v94, v95, v94
	v_fma_f16 v95, v43, s4, -v44
	v_mul_f16_e32 v47, 0xb482, v47
	v_add_f16_e32 v26, v27, v26
	v_fma_f16 v27, v46, s14, v70
	v_add_f16_e32 v10, v11, v10
	v_fma_f16 v11, v42, s17, v40
	v_add_f16_e32 v94, v95, v94
	v_fma_f16 v95, v46, s2, -v47
	v_mul_f16_e32 v50, 0xb853, v50
	v_add_f16_e32 v26, v27, v26
	v_fma_f16 v27, v49, s4, -v71
	v_add_f16_e32 v10, v11, v10
	v_fma_f16 v11, v43, s4, v44
	v_add_f16_e32 v94, v95, v94
	v_fma_f16 v95, v49, s3, v50
	v_mul_f16_e32 v54, 0xbb47, v54
	v_add_f16_e32 v27, v6, v27
	v_fma_f16 v28, v53, s15, -v73
	v_add_f16_e32 v10, v11, v10
	v_fma_f16 v11, v46, s2, v47
	v_add_f16_e32 v95, v6, v95
	v_fma_f16 v96, v53, s14, v54
	v_mul_f16_e32 v57, 0xbbeb, v57
	v_add_f16_e32 v27, v28, v27
	v_fma_f16 v28, v56, s3, -v74
	v_add_f16_e32 v10, v11, v10
	v_fma_f16 v11, v49, s3, -v50
	v_add_f16_e32 v95, v96, v95
	v_fma_f16 v96, v56, s15, v57
	v_mul_f16_e32 v60, 0xba0c, v60
	v_add_f16_e32 v27, v28, v27
	v_fma_f16 v28, v59, s2, -v75
	v_add_f16_e32 v6, v6, v11
	v_fma_f16 v11, v53, s14, -v54
	;; [unrolled: 7-line block ×3, first 2 shown]
	v_add_f16_e32 v95, v96, v95
	v_fma_f16 v96, v62, s2, v63
	v_add_f16_e32 v27, v28, v27
	v_fma_f16 v28, v35, s17, v77
	v_add_f16_e32 v6, v11, v6
	v_fma_f16 v11, v59, s4, -v60
	v_add_f16_e32 v95, v96, v95
	v_add_f16_sdwa v17, v30, v17 dst_sel:DWORD dst_unused:UNUSED_PAD src0_sel:WORD_1 src1_sel:DWORD
	v_add_f16_e32 v28, v16, v28
	v_fma_f16 v29, v39, s16, v79
	v_add_f16_e32 v6, v11, v6
	v_fma_f16 v11, v62, s2, -v63
	v_add_f16_e32 v28, v29, v28
	v_fma_f16 v29, v42, s23, v80
	v_add_f16_e32 v6, v11, v6
	v_lshl_add_u32 v11, v23, 2, v22
	v_pack_b32_f16 v16, v95, v94
	v_pack_b32_f16 v2, v2, v17
	v_add_f16_e32 v28, v29, v28
	v_fma_f16 v12, v43, s3, v12
	ds_write2_b32 v11, v2, v16 offset1:1
	v_pack_b32_f16 v2, v7, v13
	v_pack_b32_f16 v7, v89, v83
	v_add_f16_e32 v12, v12, v28
	v_fma_f16 v28, v46, s4, v78
	ds_write2_b32 v11, v7, v2 offset0:2 offset1:3
	v_pack_b32_f16 v2, v52, v36
	v_pack_b32_f16 v7, v72, v66
	v_add_f16_e32 v12, v28, v12
	ds_write2_b32 v11, v7, v2 offset0:4 offset1:5
	v_pack_b32_f16 v2, v27, v26
	v_pack_b32_f16 v7, v25, v24
	ds_write2_b32 v11, v7, v2 offset0:6 offset1:7
	v_pack_b32_f16 v2, v9, v8
	v_pack_b32_f16 v3, v3, v12
	ds_write2_b32 v11, v3, v2 offset0:8 offset1:9
	v_pack_b32_f16 v2, v6, v10
	ds_write_b32 v11, v2 offset:40
.LBB0_13:
	s_or_b64 exec, exec, s[0:1]
	s_waitcnt lgkmcnt(0)
	s_barrier
	ds_read2_b32 v[2:3], v15 offset1:11
	ds_read_b32 v6, v15 offset:88
	s_mov_b32 s0, 0xbaee
	s_movk_i32 s1, 0x3aee
	s_waitcnt lgkmcnt(1)
	v_lshrrev_b32_e32 v8, 16, v3
	v_mul_f16_sdwa v10, v4, v8 dst_sel:DWORD dst_unused:UNUSED_PAD src0_sel:WORD_1 src1_sel:DWORD
	s_waitcnt lgkmcnt(0)
	v_lshrrev_b32_e32 v9, 16, v6
	v_fma_f16 v10, v4, v3, v10
	v_mul_f16_sdwa v3, v4, v3 dst_sel:DWORD dst_unused:UNUSED_PAD src0_sel:WORD_1 src1_sel:DWORD
	v_fma_f16 v3, v4, v8, -v3
	v_mul_f16_sdwa v4, v5, v9 dst_sel:DWORD dst_unused:UNUSED_PAD src0_sel:WORD_1 src1_sel:DWORD
	v_fma_f16 v4, v5, v6, v4
	v_mul_f16_sdwa v6, v5, v6 dst_sel:DWORD dst_unused:UNUSED_PAD src0_sel:WORD_1 src1_sel:DWORD
	v_fma_f16 v5, v5, v9, -v6
	v_add_f16_e32 v8, v10, v4
	v_lshrrev_b32_e32 v7, 16, v2
	v_add_f16_e32 v6, v2, v10
	v_fma_f16 v2, v8, -0.5, v2
	v_sub_f16_e32 v8, v3, v5
	v_fma_f16 v9, v8, s0, v2
	v_fma_f16 v2, v8, s1, v2
	v_add_f16_e32 v8, v7, v3
	v_add_f16_e32 v3, v3, v5
	;; [unrolled: 1-line block ×3, first 2 shown]
	v_fma_f16 v3, v3, -0.5, v7
	v_sub_f16_e32 v4, v10, v4
	v_add_f16_e32 v8, v8, v5
	v_fma_f16 v5, v4, s1, v3
	v_fma_f16 v3, v4, s0, v3
	v_pack_b32_f16 v4, v6, v8
	v_pack_b32_f16 v5, v9, v5
	;; [unrolled: 1-line block ×3, first 2 shown]
	ds_write2_b32 v14, v4, v5 offset1:11
	ds_write_b32 v14, v2 offset:88
	s_waitcnt lgkmcnt(0)
	s_barrier
	s_and_b64 exec, exec, vcc
	s_cbranch_execz .LBB0_15
; %bb.14:
	global_load_dword v9, v18, s[6:7]
	global_load_dword v10, v18, s[6:7] offset:12
	ds_read_b32 v16, v14
	v_mad_u64_u32 v[2:3], s[0:1], s10, v1, 0
	v_mad_u64_u32 v[4:5], s[0:1], s8, v20, 0
	v_mov_b32_e32 v6, 0x7c00
	s_mov_b32 s14, 0xf07c1f08
	v_mad_u64_u32 v[23:24], s[0:1], s11, v1, v[3:4]
	s_waitcnt lgkmcnt(0)
	v_lshrrev_b32_e32 v1, 16, v16
	v_mad_u64_u32 v[24:25], s[0:1], s9, v20, v[5:6]
	s_mov_b32 s15, 0x3f9f07c1
	v_lshl_add_u32 v7, v21, 2, v18
	global_load_dword v11, v18, s[6:7] offset:24
	global_load_dword v12, v18, s[6:7] offset:36
	;; [unrolled: 1-line block ×6, first 2 shown]
	ds_read2_b32 v[21:22], v7 offset0:3 offset1:6
	v_mov_b32_e32 v5, v24
	s_movk_i32 s18, 0x1ff
	s_movk_i32 s17, 0xffe
	;; [unrolled: 1-line block ×3, first 2 shown]
	s_mov_b32 s10, 0x8000
	s_waitcnt vmcnt(7)
	v_mul_f16_sdwa v3, v1, v9 dst_sel:DWORD dst_unused:UNUSED_PAD src0_sel:DWORD src1_sel:WORD_1
	v_fma_f16 v3, v16, v9, v3
	v_mul_f16_sdwa v16, v16, v9 dst_sel:DWORD dst_unused:UNUSED_PAD src0_sel:DWORD src1_sel:WORD_1
	v_cvt_f32_f16_e32 v3, v3
	v_fma_f16 v1, v9, v1, -v16
	v_cvt_f32_f16_e32 v1, v1
	s_waitcnt lgkmcnt(0)
	v_lshrrev_b32_e32 v9, 16, v21
	v_cvt_f64_f32_e32 v[16:17], v3
	v_mov_b32_e32 v3, v23
	v_cvt_f64_f32_e32 v[25:26], v1
	s_waitcnt vmcnt(6)
	v_mul_f16_sdwa v1, v9, v10 dst_sel:DWORD dst_unused:UNUSED_PAD src0_sel:DWORD src1_sel:WORD_1
	v_mul_f64 v[16:17], v[16:17], s[14:15]
	v_fma_f16 v1, v21, v10, v1
	v_mul_f64 v[23:24], v[25:26], s[14:15]
	v_cvt_f32_f16_e32 v20, v1
	v_mul_f16_sdwa v21, v21, v10 dst_sel:DWORD dst_unused:UNUSED_PAD src0_sel:DWORD src1_sel:WORD_1
	v_fma_f16 v9, v10, v9, -v21
	v_cvt_f32_f16_e32 v9, v9
	v_and_or_b32 v1, v17, s18, v16
	v_cmp_ne_u32_e32 vcc, 0, v1
	v_and_or_b32 v23, v24, s18, v23
	v_lshrrev_b32_e32 v16, 8, v17
	v_bfe_u32 v25, v17, 20, 11
	v_cndmask_b32_e64 v1, 0, 1, vcc
	v_cmp_ne_u32_e32 vcc, 0, v23
	v_lshrrev_b32_e32 v26, 8, v24
	v_bfe_u32 v27, v24, 20, 11
	v_sub_u32_e32 v28, 0x3f1, v25
	v_cndmask_b32_e64 v23, 0, 1, vcc
	v_and_or_b32 v1, v16, s17, v1
	v_sub_u32_e32 v29, 0x3f1, v27
	v_med3_i32 v16, v28, 0, 13
	v_and_or_b32 v23, v26, s17, v23
	v_or_b32_e32 v28, 0x1000, v1
	v_add_u32_e32 v25, 0xfffffc10, v25
	v_med3_i32 v26, v29, 0, 13
	v_cmp_ne_u32_e32 vcc, 0, v1
	v_or_b32_e32 v30, 0x1000, v23
	v_lshrrev_b32_e32 v32, v16, v28
	v_add_u32_e32 v27, 0xfffffc10, v27
	v_lshl_or_b32 v29, v25, 12, v1
	v_cndmask_b32_e64 v1, 0, 1, vcc
	v_cmp_ne_u32_e32 vcc, 0, v23
	v_lshrrev_b32_e32 v33, v26, v30
	v_lshlrev_b32_e32 v16, v16, v32
	v_lshl_or_b32 v31, v27, 12, v23
	v_cndmask_b32_e64 v23, 0, 1, vcc
	v_lshlrev_b32_e32 v26, v26, v33
	v_cmp_ne_u32_e32 vcc, v16, v28
	v_cndmask_b32_e64 v16, 0, 1, vcc
	v_cmp_ne_u32_e32 vcc, v26, v30
	v_cndmask_b32_e64 v26, 0, 1, vcc
	v_or_b32_e32 v16, v32, v16
	v_cmp_gt_i32_e32 vcc, 1, v25
	v_cndmask_b32_e32 v16, v29, v16, vcc
	v_or_b32_e32 v26, v33, v26
	v_cmp_gt_i32_e32 vcc, 1, v27
	v_and_b32_e32 v28, 7, v16
	v_cndmask_b32_e32 v26, v31, v26, vcc
	v_cmp_lt_i32_e32 vcc, 5, v28
	v_cmp_eq_u32_e64 s[0:1], 3, v28
	v_lshrrev_b32_e32 v16, 2, v16
	v_and_b32_e32 v29, 7, v26
	s_or_b64 vcc, s[0:1], vcc
	v_cmp_lt_i32_e64 s[2:3], 5, v29
	v_cmp_eq_u32_e64 s[4:5], 3, v29
	v_addc_co_u32_e32 v16, vcc, 0, v16, vcc
	v_lshrrev_b32_e32 v26, 2, v26
	s_or_b64 vcc, s[4:5], s[2:3]
	v_addc_co_u32_e32 v26, vcc, 0, v26, vcc
	v_cmp_gt_i32_e32 vcc, 31, v25
	v_cndmask_b32_e32 v16, v6, v16, vcc
	v_cmp_gt_i32_e32 vcc, 31, v27
	v_lshl_or_b32 v1, v1, 9, v6
	v_cndmask_b32_e32 v26, v6, v26, vcc
	v_cmp_eq_u32_e32 vcc, s16, v25
	v_lshrrev_b32_e32 v17, 16, v17
	v_lshl_or_b32 v23, v23, 9, v6
	v_cndmask_b32_e32 v1, v16, v1, vcc
	v_cmp_eq_u32_e32 vcc, s16, v27
	v_lshrrev_b32_e32 v24, 16, v24
	v_cndmask_b32_e32 v16, v26, v23, vcc
	v_and_or_b32 v1, v17, s10, v1
	v_and_or_b32 v16, v24, s10, v16
	v_and_b32_e32 v1, 0xffff, v1
	v_lshl_or_b32 v23, v16, 16, v1
	v_cvt_f64_f32_e32 v[16:17], v20
	v_lshlrev_b64 v[1:2], 2, v[2:3]
	v_mov_b32_e32 v3, s13
	v_add_co_u32_e32 v1, vcc, s12, v1
	v_mul_f64 v[16:17], v[16:17], s[14:15]
	v_addc_co_u32_e32 v2, vcc, v3, v2, vcc
	v_lshlrev_b64 v[3:4], 2, v[4:5]
	v_cvt_f64_f32_e32 v[9:10], v9
	v_add_co_u32_e32 v3, vcc, v1, v3
	v_addc_co_u32_e32 v4, vcc, v2, v4, vcc
	v_and_or_b32 v5, v17, s18, v16
	v_cmp_ne_u32_e32 vcc, 0, v5
	v_cndmask_b32_e64 v5, 0, 1, vcc
	v_lshrrev_b32_e32 v16, 8, v17
	v_bfe_u32 v20, v17, 20, 11
	v_and_or_b32 v5, v16, s17, v5
	v_sub_u32_e32 v25, 0x3f1, v20
	v_or_b32_e32 v16, 0x1000, v5
	v_med3_i32 v25, v25, 0, 13
	v_lshrrev_b32_e32 v26, v25, v16
	v_lshlrev_b32_e32 v25, v25, v26
	v_cmp_ne_u32_e32 vcc, v25, v16
	v_cndmask_b32_e64 v16, 0, 1, vcc
	v_add_u32_e32 v20, 0xfffffc10, v20
	v_or_b32_e32 v16, v26, v16
	v_lshl_or_b32 v25, v20, 12, v5
	v_cmp_gt_i32_e32 vcc, 1, v20
	v_cndmask_b32_e32 v16, v25, v16, vcc
	v_mul_f64 v[9:10], v[9:10], s[14:15]
	v_and_b32_e32 v25, 7, v16
	v_cmp_lt_i32_e32 vcc, 5, v25
	v_cmp_eq_u32_e64 s[0:1], 3, v25
	v_lshrrev_b32_e32 v16, 2, v16
	s_or_b64 vcc, s[0:1], vcc
	v_addc_co_u32_e32 v16, vcc, 0, v16, vcc
	v_cmp_gt_i32_e32 vcc, 31, v20
	v_cndmask_b32_e32 v16, v6, v16, vcc
	v_cmp_ne_u32_e32 vcc, 0, v5
	v_cndmask_b32_e64 v5, 0, 1, vcc
	v_lshl_or_b32 v5, v5, 9, v6
	v_cmp_eq_u32_e32 vcc, s16, v20
	v_and_or_b32 v9, v10, s18, v9
	v_cndmask_b32_e32 v5, v16, v5, vcc
	v_lshrrev_b32_e32 v16, 16, v17
	v_cmp_ne_u32_e32 vcc, 0, v9
	v_and_or_b32 v5, v16, s10, v5
	v_cndmask_b32_e64 v9, 0, 1, vcc
	v_lshrrev_b32_e32 v16, 8, v10
	v_bfe_u32 v17, v10, 20, 11
	v_and_or_b32 v9, v16, s17, v9
	v_sub_u32_e32 v20, 0x3f1, v17
	v_or_b32_e32 v16, 0x1000, v9
	v_med3_i32 v20, v20, 0, 13
	v_lshrrev_b32_e32 v21, v20, v16
	v_lshlrev_b32_e32 v20, v20, v21
	v_cmp_ne_u32_e32 vcc, v20, v16
	v_cndmask_b32_e64 v16, 0, 1, vcc
	v_add_u32_e32 v17, 0xfffffc10, v17
	v_or_b32_e32 v16, v21, v16
	v_lshl_or_b32 v20, v17, 12, v9
	v_cmp_gt_i32_e32 vcc, 1, v17
	v_cndmask_b32_e32 v16, v20, v16, vcc
	v_and_b32_e32 v20, 7, v16
	v_cmp_lt_i32_e32 vcc, 5, v20
	v_cmp_eq_u32_e64 s[0:1], 3, v20
	v_lshrrev_b32_e32 v16, 2, v16
	s_or_b64 vcc, s[0:1], vcc
	v_addc_co_u32_e32 v16, vcc, 0, v16, vcc
	v_cmp_gt_i32_e32 vcc, 31, v17
	v_cndmask_b32_e32 v16, v6, v16, vcc
	v_cmp_ne_u32_e32 vcc, 0, v9
	v_cndmask_b32_e64 v9, 0, 1, vcc
	v_lshl_or_b32 v9, v9, 9, v6
	v_cmp_eq_u32_e32 vcc, s16, v17
	v_cndmask_b32_e32 v9, v16, v9, vcc
	v_lshrrev_b32_e32 v16, 16, v22
	s_waitcnt vmcnt(5)
	v_mul_f16_sdwa v17, v16, v11 dst_sel:DWORD dst_unused:UNUSED_PAD src0_sel:DWORD src1_sel:WORD_1
	v_fma_f16 v17, v22, v11, v17
	v_cvt_f32_f16_e32 v17, v17
	v_lshrrev_b32_e32 v10, 16, v10
	v_and_or_b32 v9, v10, s10, v9
	v_and_b32_e32 v5, 0xffff, v5
	v_lshl_or_b32 v5, v9, 16, v5
	v_cvt_f64_f32_e32 v[9:10], v17
	s_mul_i32 s0, s9, 12
	s_mul_hi_u32 s2, s8, 12
	s_add_i32 s2, s2, s0
	v_mul_f64 v[9:10], v[9:10], s[14:15]
	s_mul_i32 s3, s8, 12
	global_store_dword v[3:4], v23, off
	v_mov_b32_e32 v17, s2
	v_add_co_u32_e32 v3, vcc, s3, v3
	v_addc_co_u32_e32 v4, vcc, v4, v17, vcc
	global_store_dword v[3:4], v5, off
	v_and_or_b32 v5, v10, s18, v9
	v_cmp_ne_u32_e32 vcc, 0, v5
	v_cndmask_b32_e64 v5, 0, 1, vcc
	v_lshrrev_b32_e32 v9, 8, v10
	v_bfe_u32 v17, v10, 20, 11
	v_and_or_b32 v5, v9, s17, v5
	v_sub_u32_e32 v20, 0x3f1, v17
	v_or_b32_e32 v9, 0x1000, v5
	v_med3_i32 v20, v20, 0, 13
	v_lshrrev_b32_e32 v21, v20, v9
	v_lshlrev_b32_e32 v20, v20, v21
	v_cmp_ne_u32_e32 vcc, v20, v9
	v_cndmask_b32_e64 v9, 0, 1, vcc
	v_or_b32_e32 v9, v21, v9
	v_mul_f16_sdwa v21, v22, v11 dst_sel:DWORD dst_unused:UNUSED_PAD src0_sel:DWORD src1_sel:WORD_1
	v_fma_f16 v11, v11, v16, -v21
	v_add_u32_e32 v20, 0xfffffc10, v17
	v_cvt_f32_f16_e32 v11, v11
	v_lshl_or_b32 v17, v20, 12, v5
	v_cmp_gt_i32_e32 vcc, 1, v20
	v_cndmask_b32_e32 v9, v17, v9, vcc
	v_and_b32_e32 v17, 7, v9
	v_cmp_lt_i32_e32 vcc, 5, v17
	v_cmp_eq_u32_e64 s[0:1], 3, v17
	v_cvt_f64_f32_e32 v[16:17], v11
	v_lshrrev_b32_e32 v9, 2, v9
	s_or_b64 vcc, s[0:1], vcc
	v_addc_co_u32_e32 v9, vcc, 0, v9, vcc
	v_mul_f64 v[16:17], v[16:17], s[14:15]
	v_cmp_gt_i32_e32 vcc, 31, v20
	v_cndmask_b32_e32 v9, v6, v9, vcc
	v_cmp_ne_u32_e32 vcc, 0, v5
	v_cndmask_b32_e64 v5, 0, 1, vcc
	v_lshl_or_b32 v5, v5, 9, v6
	v_cmp_eq_u32_e32 vcc, s16, v20
	v_cndmask_b32_e32 v5, v9, v5, vcc
	v_lshrrev_b32_e32 v9, 16, v10
	v_and_or_b32 v5, v9, s10, v5
	v_and_or_b32 v9, v17, s18, v16
	v_cmp_ne_u32_e32 vcc, 0, v9
	v_cndmask_b32_e64 v9, 0, 1, vcc
	v_lshrrev_b32_e32 v10, 8, v17
	v_bfe_u32 v11, v17, 20, 11
	v_and_or_b32 v9, v10, s17, v9
	v_sub_u32_e32 v16, 0x3f1, v11
	v_or_b32_e32 v10, 0x1000, v9
	v_med3_i32 v16, v16, 0, 13
	v_lshrrev_b32_e32 v20, v16, v10
	v_lshlrev_b32_e32 v16, v16, v20
	ds_read2_b32 v[23:24], v7 offset0:9 offset1:12
	v_cmp_ne_u32_e32 vcc, v16, v10
	v_cndmask_b32_e64 v10, 0, 1, vcc
	v_add_u32_e32 v11, 0xfffffc10, v11
	v_or_b32_e32 v10, v20, v10
	v_lshl_or_b32 v16, v11, 12, v9
	v_cmp_gt_i32_e32 vcc, 1, v11
	v_cndmask_b32_e32 v10, v16, v10, vcc
	v_and_b32_e32 v16, 7, v10
	v_cmp_lt_i32_e32 vcc, 5, v16
	v_cmp_eq_u32_e64 s[0:1], 3, v16
	s_waitcnt lgkmcnt(0)
	v_lshrrev_b32_e32 v16, 16, v23
	v_lshrrev_b32_e32 v10, 2, v10
	s_or_b64 vcc, s[0:1], vcc
	s_waitcnt vmcnt(6)
	v_mul_f16_sdwa v20, v16, v12 dst_sel:DWORD dst_unused:UNUSED_PAD src0_sel:DWORD src1_sel:WORD_1
	v_addc_co_u32_e32 v10, vcc, 0, v10, vcc
	v_fma_f16 v20, v23, v12, v20
	v_cmp_gt_i32_e32 vcc, 31, v11
	v_cvt_f32_f16_e32 v20, v20
	v_cndmask_b32_e32 v10, v6, v10, vcc
	v_cmp_ne_u32_e32 vcc, 0, v9
	v_cndmask_b32_e64 v9, 0, 1, vcc
	v_lshl_or_b32 v9, v9, 9, v6
	v_cmp_eq_u32_e32 vcc, s16, v11
	v_cndmask_b32_e32 v11, v10, v9, vcc
	v_cvt_f64_f32_e32 v[9:10], v20
	v_lshrrev_b32_e32 v17, 16, v17
	v_and_or_b32 v11, v17, s10, v11
	v_and_b32_e32 v5, 0xffff, v5
	v_mul_f64 v[9:10], v[9:10], s[14:15]
	v_lshl_or_b32 v5, v11, 16, v5
	v_mov_b32_e32 v11, s2
	v_add_co_u32_e32 v3, vcc, s3, v3
	v_addc_co_u32_e32 v4, vcc, v4, v11, vcc
	global_store_dword v[3:4], v5, off
	v_and_or_b32 v5, v10, s18, v9
	v_cmp_ne_u32_e32 vcc, 0, v5
	v_cndmask_b32_e64 v5, 0, 1, vcc
	v_lshrrev_b32_e32 v9, 8, v10
	v_bfe_u32 v11, v10, 20, 11
	v_and_or_b32 v5, v9, s17, v5
	v_sub_u32_e32 v17, 0x3f1, v11
	v_or_b32_e32 v9, 0x1000, v5
	v_med3_i32 v17, v17, 0, 13
	v_lshrrev_b32_e32 v20, v17, v9
	v_lshlrev_b32_e32 v17, v17, v20
	v_cmp_ne_u32_e32 vcc, v17, v9
	v_cndmask_b32_e64 v9, 0, 1, vcc
	v_or_b32_e32 v9, v20, v9
	v_mul_f16_sdwa v20, v23, v12 dst_sel:DWORD dst_unused:UNUSED_PAD src0_sel:DWORD src1_sel:WORD_1
	v_fma_f16 v12, v12, v16, -v20
	v_add_u32_e32 v17, 0xfffffc10, v11
	v_cvt_f32_f16_e32 v12, v12
	v_lshl_or_b32 v11, v17, 12, v5
	v_cmp_gt_i32_e32 vcc, 1, v17
	v_cndmask_b32_e32 v9, v11, v9, vcc
	v_and_b32_e32 v11, 7, v9
	v_cmp_lt_i32_e32 vcc, 5, v11
	v_cmp_eq_u32_e64 s[0:1], 3, v11
	v_cvt_f64_f32_e32 v[11:12], v12
	v_lshrrev_b32_e32 v9, 2, v9
	s_or_b64 vcc, s[0:1], vcc
	v_addc_co_u32_e32 v9, vcc, 0, v9, vcc
	v_mul_f64 v[11:12], v[11:12], s[14:15]
	v_cmp_gt_i32_e32 vcc, 31, v17
	v_cndmask_b32_e32 v9, v6, v9, vcc
	v_cmp_ne_u32_e32 vcc, 0, v5
	v_cndmask_b32_e64 v5, 0, 1, vcc
	v_lshl_or_b32 v5, v5, 9, v6
	v_cmp_eq_u32_e32 vcc, s16, v17
	v_cndmask_b32_e32 v5, v9, v5, vcc
	v_lshrrev_b32_e32 v9, 16, v10
	v_and_or_b32 v5, v9, s10, v5
	v_and_or_b32 v9, v12, s18, v11
	v_cmp_ne_u32_e32 vcc, 0, v9
	v_cndmask_b32_e64 v9, 0, 1, vcc
	v_lshrrev_b32_e32 v10, 8, v12
	v_bfe_u32 v11, v12, 20, 11
	v_and_or_b32 v9, v10, s17, v9
	v_sub_u32_e32 v16, 0x3f1, v11
	v_or_b32_e32 v10, 0x1000, v9
	v_med3_i32 v16, v16, 0, 13
	v_lshrrev_b32_e32 v17, v16, v10
	v_lshlrev_b32_e32 v16, v16, v17
	v_cmp_ne_u32_e32 vcc, v16, v10
	v_cndmask_b32_e64 v10, 0, 1, vcc
	v_add_u32_e32 v11, 0xfffffc10, v11
	v_or_b32_e32 v10, v17, v10
	v_lshl_or_b32 v16, v11, 12, v9
	v_cmp_gt_i32_e32 vcc, 1, v11
	v_cndmask_b32_e32 v10, v16, v10, vcc
	v_and_b32_e32 v16, 7, v10
	v_cmp_lt_i32_e32 vcc, 5, v16
	v_cmp_eq_u32_e64 s[0:1], 3, v16
	v_lshrrev_b32_e32 v16, 16, v24
	v_lshrrev_b32_e32 v10, 2, v10
	s_or_b64 vcc, s[0:1], vcc
	s_waitcnt vmcnt(6)
	v_mul_f16_sdwa v17, v16, v13 dst_sel:DWORD dst_unused:UNUSED_PAD src0_sel:DWORD src1_sel:WORD_1
	v_addc_co_u32_e32 v10, vcc, 0, v10, vcc
	v_fma_f16 v17, v24, v13, v17
	v_cmp_gt_i32_e32 vcc, 31, v11
	v_cvt_f32_f16_e32 v17, v17
	v_cndmask_b32_e32 v10, v6, v10, vcc
	v_cmp_ne_u32_e32 vcc, 0, v9
	v_cndmask_b32_e64 v9, 0, 1, vcc
	v_lshl_or_b32 v9, v9, 9, v6
	v_cmp_eq_u32_e32 vcc, s16, v11
	v_cndmask_b32_e32 v11, v10, v9, vcc
	v_cvt_f64_f32_e32 v[9:10], v17
	v_lshrrev_b32_e32 v12, 16, v12
	v_and_or_b32 v11, v12, s10, v11
	v_and_b32_e32 v5, 0xffff, v5
	v_mul_f64 v[9:10], v[9:10], s[14:15]
	v_lshl_or_b32 v5, v11, 16, v5
	v_mov_b32_e32 v11, s2
	v_add_co_u32_e32 v3, vcc, s3, v3
	v_addc_co_u32_e32 v4, vcc, v4, v11, vcc
	global_store_dword v[3:4], v5, off
	v_and_or_b32 v5, v10, s18, v9
	v_cmp_ne_u32_e32 vcc, 0, v5
	v_cndmask_b32_e64 v5, 0, 1, vcc
	v_lshrrev_b32_e32 v9, 8, v10
	v_bfe_u32 v11, v10, 20, 11
	v_and_or_b32 v5, v9, s17, v5
	v_sub_u32_e32 v12, 0x3f1, v11
	v_or_b32_e32 v9, 0x1000, v5
	v_med3_i32 v12, v12, 0, 13
	v_lshrrev_b32_e32 v17, v12, v9
	v_lshlrev_b32_e32 v12, v12, v17
	v_cmp_ne_u32_e32 vcc, v12, v9
	v_mul_f16_sdwa v12, v24, v13 dst_sel:DWORD dst_unused:UNUSED_PAD src0_sel:DWORD src1_sel:WORD_1
	v_cndmask_b32_e64 v9, 0, 1, vcc
	v_fma_f16 v12, v13, v16, -v12
	v_or_b32_e32 v9, v17, v9
	v_add_u32_e32 v17, 0xfffffc10, v11
	v_cvt_f32_f16_e32 v12, v12
	v_lshl_or_b32 v11, v17, 12, v5
	v_cmp_gt_i32_e32 vcc, 1, v17
	v_cndmask_b32_e32 v9, v11, v9, vcc
	v_and_b32_e32 v11, 7, v9
	v_cmp_lt_i32_e32 vcc, 5, v11
	v_cmp_eq_u32_e64 s[0:1], 3, v11
	v_cvt_f64_f32_e32 v[11:12], v12
	v_lshrrev_b32_e32 v9, 2, v9
	s_or_b64 vcc, s[0:1], vcc
	v_addc_co_u32_e32 v9, vcc, 0, v9, vcc
	v_mul_f64 v[11:12], v[11:12], s[14:15]
	v_cmp_gt_i32_e32 vcc, 31, v17
	v_cndmask_b32_e32 v9, v6, v9, vcc
	v_cmp_ne_u32_e32 vcc, 0, v5
	v_cndmask_b32_e64 v5, 0, 1, vcc
	v_lshl_or_b32 v5, v5, 9, v6
	v_cmp_eq_u32_e32 vcc, s16, v17
	v_cndmask_b32_e32 v5, v9, v5, vcc
	v_lshrrev_b32_e32 v9, 16, v10
	v_and_or_b32 v13, v9, s10, v5
	v_and_or_b32 v5, v12, s18, v11
	v_cmp_ne_u32_e32 vcc, 0, v5
	v_cndmask_b32_e64 v5, 0, 1, vcc
	v_lshrrev_b32_e32 v9, 8, v12
	v_bfe_u32 v10, v12, 20, 11
	v_and_or_b32 v5, v9, s17, v5
	v_sub_u32_e32 v11, 0x3f1, v10
	v_or_b32_e32 v9, 0x1000, v5
	v_med3_i32 v11, v11, 0, 13
	v_lshrrev_b32_e32 v16, v11, v9
	v_lshlrev_b32_e32 v11, v11, v16
	v_cmp_ne_u32_e32 vcc, v11, v9
	v_cndmask_b32_e64 v9, 0, 1, vcc
	v_add_u32_e32 v11, 0xfffffc10, v10
	v_or_b32_e32 v9, v16, v9
	v_lshl_or_b32 v10, v11, 12, v5
	v_cmp_gt_i32_e32 vcc, 1, v11
	v_cndmask_b32_e32 v9, v10, v9, vcc
	v_and_b32_e32 v10, 7, v9
	v_cmp_lt_i32_e32 vcc, 5, v10
	v_cmp_eq_u32_e64 s[0:1], 3, v10
	v_lshrrev_b32_e32 v9, 2, v9
	s_or_b64 vcc, s[0:1], vcc
	v_addc_co_u32_e32 v9, vcc, 0, v9, vcc
	ds_read2_b32 v[16:17], v7 offset0:15 offset1:18
	v_cmp_gt_i32_e32 vcc, 31, v11
	v_cndmask_b32_e32 v20, v6, v9, vcc
	v_mad_u64_u32 v[9:10], s[0:1], s8, v19, 0
	v_cmp_ne_u32_e32 vcc, 0, v5
	v_cndmask_b32_e64 v5, 0, 1, vcc
	v_lshl_or_b32 v5, v5, 9, v6
	v_cmp_eq_u32_e32 vcc, s16, v11
	s_waitcnt lgkmcnt(0)
	v_lshrrev_b32_e32 v21, 16, v16
	v_cndmask_b32_e32 v20, v20, v5, vcc
	v_mov_b32_e32 v5, v10
	s_waitcnt vmcnt(6)
	v_mul_f16_sdwa v10, v21, v14 dst_sel:DWORD dst_unused:UNUSED_PAD src0_sel:DWORD src1_sel:WORD_1
	v_fma_f16 v10, v16, v14, v10
	v_cvt_f32_f16_e32 v22, v10
	v_mad_u64_u32 v[10:11], s[0:1], s9, v19, v[5:6]
	v_lshrrev_b32_e32 v5, 16, v12
	v_cvt_f64_f32_e32 v[11:12], v22
	v_lshlrev_b64 v[9:10], 2, v[9:10]
	v_and_or_b32 v5, v5, s10, v20
	v_and_b32_e32 v13, 0xffff, v13
	v_mul_f64 v[11:12], v[11:12], s[14:15]
	v_add_co_u32_e32 v9, vcc, v1, v9
	v_lshl_or_b32 v5, v5, 16, v13
	v_addc_co_u32_e32 v10, vcc, v2, v10, vcc
	global_store_dword v[9:10], v5, off
	s_mul_i32 s4, s9, 24
	v_and_or_b32 v5, v12, s18, v11
	v_cmp_ne_u32_e32 vcc, 0, v5
	v_cndmask_b32_e64 v5, 0, 1, vcc
	v_lshrrev_b32_e32 v9, 8, v12
	v_bfe_u32 v10, v12, 20, 11
	v_and_or_b32 v5, v9, s17, v5
	v_sub_u32_e32 v11, 0x3f1, v10
	v_or_b32_e32 v9, 0x1000, v5
	v_med3_i32 v11, v11, 0, 13
	v_lshrrev_b32_e32 v13, v11, v9
	v_lshlrev_b32_e32 v11, v11, v13
	v_cmp_ne_u32_e32 vcc, v11, v9
	v_cndmask_b32_e64 v9, 0, 1, vcc
	v_or_b32_e32 v9, v13, v9
	v_mul_f16_sdwa v13, v16, v14 dst_sel:DWORD dst_unused:UNUSED_PAD src0_sel:DWORD src1_sel:WORD_1
	v_fma_f16 v13, v14, v21, -v13
	v_add_u32_e32 v11, 0xfffffc10, v10
	v_cvt_f32_f16_e32 v13, v13
	v_lshl_or_b32 v10, v11, 12, v5
	v_cmp_gt_i32_e32 vcc, 1, v11
	v_cndmask_b32_e32 v9, v10, v9, vcc
	v_and_b32_e32 v10, 7, v9
	v_cmp_lt_i32_e32 vcc, 5, v10
	v_cmp_eq_u32_e64 s[0:1], 3, v10
	v_lshrrev_b32_e32 v14, 2, v9
	v_cvt_f64_f32_e32 v[9:10], v13
	s_or_b64 vcc, s[0:1], vcc
	v_addc_co_u32_e32 v13, vcc, 0, v14, vcc
	v_mul_f64 v[9:10], v[9:10], s[14:15]
	v_cmp_gt_i32_e32 vcc, 31, v11
	v_cndmask_b32_e32 v13, v6, v13, vcc
	v_cmp_ne_u32_e32 vcc, 0, v5
	v_cndmask_b32_e64 v5, 0, 1, vcc
	v_lshl_or_b32 v5, v5, 9, v6
	v_cmp_eq_u32_e32 vcc, s16, v11
	v_cndmask_b32_e32 v5, v13, v5, vcc
	v_and_or_b32 v9, v10, s18, v9
	v_lshrrev_b32_e32 v11, 16, v12
	v_cmp_ne_u32_e32 vcc, 0, v9
	v_and_or_b32 v5, v11, s10, v5
	v_cndmask_b32_e64 v9, 0, 1, vcc
	v_lshrrev_b32_e32 v11, 8, v10
	v_bfe_u32 v12, v10, 20, 11
	v_and_or_b32 v9, v11, s17, v9
	v_sub_u32_e32 v13, 0x3f1, v12
	v_or_b32_e32 v11, 0x1000, v9
	v_med3_i32 v13, v13, 0, 13
	v_lshrrev_b32_e32 v14, v13, v11
	v_lshlrev_b32_e32 v13, v13, v14
	v_cmp_ne_u32_e32 vcc, v13, v11
	v_cndmask_b32_e64 v11, 0, 1, vcc
	v_add_u32_e32 v13, 0xfffffc10, v12
	v_or_b32_e32 v11, v14, v11
	v_lshl_or_b32 v12, v13, 12, v9
	v_cmp_gt_i32_e32 vcc, 1, v13
	v_cndmask_b32_e32 v11, v12, v11, vcc
	v_and_b32_e32 v12, 7, v11
	v_cmp_lt_i32_e32 vcc, 5, v12
	v_cmp_eq_u32_e64 s[0:1], 3, v12
	v_lshrrev_b32_e32 v11, 2, v11
	s_or_b64 vcc, s[0:1], vcc
	v_addc_co_u32_e32 v11, vcc, 0, v11, vcc
	v_cmp_gt_i32_e32 vcc, 31, v13
	v_lshrrev_b32_e32 v16, 16, v17
	v_cndmask_b32_e32 v14, v6, v11, vcc
	s_waitcnt vmcnt(6)
	v_mul_f16_sdwa v11, v16, v15 dst_sel:DWORD dst_unused:UNUSED_PAD src0_sel:DWORD src1_sel:WORD_1
	v_fma_f16 v11, v17, v15, v11
	v_cvt_f32_f16_e32 v11, v11
	v_cmp_ne_u32_e32 vcc, 0, v9
	v_cndmask_b32_e64 v9, 0, 1, vcc
	v_lshl_or_b32 v9, v9, 9, v6
	v_cvt_f64_f32_e32 v[11:12], v11
	v_cmp_eq_u32_e32 vcc, s16, v13
	v_cndmask_b32_e32 v9, v14, v9, vcc
	v_lshrrev_b32_e32 v10, 16, v10
	v_and_or_b32 v13, v10, s10, v9
	v_mul_f64 v[9:10], v[11:12], s[14:15]
	v_mad_u64_u32 v[3:4], s[0:1], s8, 24, v[3:4]
	v_and_b32_e32 v5, 0xffff, v5
	v_lshl_or_b32 v5, v13, 16, v5
	v_add_u32_e32 v4, s4, v4
	global_store_dword v[3:4], v5, off
	v_and_or_b32 v5, v10, s18, v9
	v_cmp_ne_u32_e32 vcc, 0, v5
	v_cndmask_b32_e64 v5, 0, 1, vcc
	v_lshrrev_b32_e32 v9, 8, v10
	v_bfe_u32 v11, v10, 20, 11
	v_and_or_b32 v5, v9, s17, v5
	v_sub_u32_e32 v12, 0x3f1, v11
	v_or_b32_e32 v9, 0x1000, v5
	v_med3_i32 v12, v12, 0, 13
	v_lshrrev_b32_e32 v13, v12, v9
	v_lshlrev_b32_e32 v12, v12, v13
	v_cmp_ne_u32_e32 vcc, v12, v9
	v_mul_f16_sdwa v12, v17, v15 dst_sel:DWORD dst_unused:UNUSED_PAD src0_sel:DWORD src1_sel:WORD_1
	v_cndmask_b32_e64 v9, 0, 1, vcc
	v_fma_f16 v12, v15, v16, -v12
	v_or_b32_e32 v9, v13, v9
	v_add_u32_e32 v13, 0xfffffc10, v11
	v_cvt_f32_f16_e32 v12, v12
	v_lshl_or_b32 v11, v13, 12, v5
	v_cmp_gt_i32_e32 vcc, 1, v13
	v_cndmask_b32_e32 v9, v11, v9, vcc
	v_and_b32_e32 v11, 7, v9
	v_cmp_lt_i32_e32 vcc, 5, v11
	v_cmp_eq_u32_e64 s[0:1], 3, v11
	v_cvt_f64_f32_e32 v[11:12], v12
	v_lshrrev_b32_e32 v9, 2, v9
	s_or_b64 vcc, s[0:1], vcc
	v_addc_co_u32_e32 v9, vcc, 0, v9, vcc
	v_mul_f64 v[11:12], v[11:12], s[14:15]
	v_cmp_gt_i32_e32 vcc, 31, v13
	v_cndmask_b32_e32 v9, v6, v9, vcc
	v_cmp_ne_u32_e32 vcc, 0, v5
	v_cndmask_b32_e64 v5, 0, 1, vcc
	v_lshl_or_b32 v5, v5, 9, v6
	v_cmp_eq_u32_e32 vcc, s16, v13
	v_cndmask_b32_e32 v5, v9, v5, vcc
	v_lshrrev_b32_e32 v9, 16, v10
	v_and_or_b32 v5, v9, s10, v5
	v_and_or_b32 v9, v12, s18, v11
	v_cmp_ne_u32_e32 vcc, 0, v9
	v_cndmask_b32_e64 v9, 0, 1, vcc
	v_lshrrev_b32_e32 v10, 8, v12
	v_and_or_b32 v11, v10, s17, v9
	v_bfe_u32 v10, v12, 20, 11
	v_sub_u32_e32 v13, 0x3f1, v10
	v_or_b32_e32 v9, 0x1000, v11
	v_med3_i32 v13, v13, 0, 13
	v_lshrrev_b32_e32 v14, v13, v9
	v_lshlrev_b32_e32 v13, v13, v14
	v_cmp_ne_u32_e32 vcc, v13, v9
	v_cndmask_b32_e64 v9, 0, 1, vcc
	v_add_u32_e32 v13, 0xfffffc10, v10
	v_or_b32_e32 v9, v14, v9
	v_lshl_or_b32 v10, v13, 12, v11
	v_cmp_gt_i32_e32 vcc, 1, v13
	v_cndmask_b32_e32 v9, v10, v9, vcc
	v_and_b32_e32 v10, 7, v9
	v_cmp_lt_i32_e32 vcc, 5, v10
	v_cmp_eq_u32_e64 s[0:1], 3, v10
	v_lshrrev_b32_e32 v9, 2, v9
	s_or_b64 vcc, s[0:1], vcc
	v_addc_co_u32_e32 v14, vcc, 0, v9, vcc
	v_cmp_gt_i32_e32 vcc, 31, v13
	v_cndmask_b32_e32 v14, v6, v14, vcc
	v_cmp_ne_u32_e32 vcc, 0, v11
	v_cndmask_b32_e64 v11, 0, 1, vcc
	v_lshl_or_b32 v11, v11, 9, v6
	v_cmp_eq_u32_e32 vcc, s16, v13
	v_cndmask_b32_e32 v13, v14, v11, vcc
	v_lshrrev_b32_e32 v14, 16, v12
	v_and_or_b32 v13, v14, s10, v13
	global_load_dword v14, v18, s[6:7] offset:96
	ds_read2_b32 v[9:10], v7 offset0:21 offset1:24
	v_and_b32_e32 v5, 0xffff, v5
	v_lshl_or_b32 v5, v13, 16, v5
	v_mov_b32_e32 v13, s2
	v_add_co_u32_e32 v3, vcc, s3, v3
	s_waitcnt lgkmcnt(0)
	v_lshrrev_b32_e32 v15, 16, v9
	s_waitcnt vmcnt(7)
	v_mul_f16_sdwa v16, v15, v8 dst_sel:DWORD dst_unused:UNUSED_PAD src0_sel:DWORD src1_sel:WORD_1
	v_fma_f16 v16, v9, v8, v16
	v_cvt_f32_f16_e32 v16, v16
	v_addc_co_u32_e32 v4, vcc, v4, v13, vcc
	global_store_dword v[3:4], v5, off
	v_cvt_f64_f32_e32 v[11:12], v16
	v_mul_f16_sdwa v9, v9, v8 dst_sel:DWORD dst_unused:UNUSED_PAD src0_sel:DWORD src1_sel:WORD_1
	v_fma_f16 v8, v8, v15, -v9
	v_cvt_f32_f16_e32 v8, v8
	v_mul_f64 v[11:12], v[11:12], s[14:15]
	v_cvt_f64_f32_e32 v[8:9], v8
	v_mul_f64 v[8:9], v[8:9], s[14:15]
	v_and_or_b32 v5, v12, s18, v11
	v_cmp_ne_u32_e32 vcc, 0, v5
	v_cndmask_b32_e64 v5, 0, 1, vcc
	v_lshrrev_b32_e32 v11, 8, v12
	v_bfe_u32 v13, v12, 20, 11
	v_and_or_b32 v5, v11, s17, v5
	v_sub_u32_e32 v16, 0x3f1, v13
	v_or_b32_e32 v11, 0x1000, v5
	v_med3_i32 v16, v16, 0, 13
	v_lshrrev_b32_e32 v17, v16, v11
	v_lshlrev_b32_e32 v16, v16, v17
	v_cmp_ne_u32_e32 vcc, v16, v11
	v_cndmask_b32_e64 v11, 0, 1, vcc
	v_add_u32_e32 v13, 0xfffffc10, v13
	v_or_b32_e32 v11, v17, v11
	v_lshl_or_b32 v16, v13, 12, v5
	v_cmp_gt_i32_e32 vcc, 1, v13
	v_cndmask_b32_e32 v11, v16, v11, vcc
	v_and_b32_e32 v16, 7, v11
	v_cmp_lt_i32_e32 vcc, 5, v16
	v_cmp_eq_u32_e64 s[0:1], 3, v16
	v_lshrrev_b32_e32 v11, 2, v11
	s_or_b64 vcc, s[0:1], vcc
	v_addc_co_u32_e32 v11, vcc, 0, v11, vcc
	v_cmp_gt_i32_e32 vcc, 31, v13
	v_cndmask_b32_e32 v11, v6, v11, vcc
	v_cmp_ne_u32_e32 vcc, 0, v5
	v_cndmask_b32_e64 v5, 0, 1, vcc
	v_lshl_or_b32 v5, v5, 9, v6
	v_cmp_eq_u32_e32 vcc, s16, v13
	v_and_or_b32 v8, v9, s18, v8
	v_cndmask_b32_e32 v5, v11, v5, vcc
	v_lshrrev_b32_e32 v11, 16, v12
	v_cmp_ne_u32_e32 vcc, 0, v8
	v_and_or_b32 v5, v11, s10, v5
	v_cndmask_b32_e64 v8, 0, 1, vcc
	v_lshrrev_b32_e32 v11, 8, v9
	v_bfe_u32 v12, v9, 20, 11
	v_and_or_b32 v8, v11, s17, v8
	v_sub_u32_e32 v13, 0x3f1, v12
	v_or_b32_e32 v11, 0x1000, v8
	v_med3_i32 v13, v13, 0, 13
	v_lshrrev_b32_e32 v15, v13, v11
	v_lshlrev_b32_e32 v13, v13, v15
	v_cmp_ne_u32_e32 vcc, v13, v11
	v_cndmask_b32_e64 v11, 0, 1, vcc
	v_or_b32_e32 v11, v15, v11
	global_load_dword v15, v18, s[6:7] offset:108
	global_load_dword v16, v18, s[6:7] offset:120
	v_add_u32_e32 v12, 0xfffffc10, v12
	v_lshl_or_b32 v13, v12, 12, v8
	v_cmp_gt_i32_e32 vcc, 1, v12
	v_cndmask_b32_e32 v11, v13, v11, vcc
	v_and_b32_e32 v13, 7, v11
	v_cmp_lt_i32_e32 vcc, 5, v13
	v_cmp_eq_u32_e64 s[0:1], 3, v13
	v_lshrrev_b32_e32 v13, 16, v10
	v_lshrrev_b32_e32 v11, 2, v11
	s_or_b64 vcc, s[0:1], vcc
	s_waitcnt vmcnt(3)
	v_mul_f16_sdwa v17, v13, v14 dst_sel:DWORD dst_unused:UNUSED_PAD src0_sel:DWORD src1_sel:WORD_1
	v_addc_co_u32_e32 v11, vcc, 0, v11, vcc
	v_fma_f16 v17, v10, v14, v17
	v_cmp_gt_i32_e32 vcc, 31, v12
	v_cvt_f32_f16_e32 v17, v17
	v_cndmask_b32_e32 v11, v6, v11, vcc
	v_cmp_ne_u32_e32 vcc, 0, v8
	v_cndmask_b32_e64 v8, 0, 1, vcc
	v_lshl_or_b32 v8, v8, 9, v6
	v_cmp_eq_u32_e32 vcc, s16, v12
	v_cndmask_b32_e32 v8, v11, v8, vcc
	v_cvt_f64_f32_e32 v[11:12], v17
	v_lshrrev_b32_e32 v9, 16, v9
	v_and_or_b32 v17, v9, s10, v8
	v_and_b32_e32 v5, 0xffff, v5
	v_mul_f64 v[8:9], v[11:12], s[14:15]
	v_mov_b32_e32 v11, s2
	v_add_co_u32_e32 v3, vcc, s3, v3
	v_lshl_or_b32 v5, v17, 16, v5
	v_addc_co_u32_e32 v4, vcc, v4, v11, vcc
	global_store_dword v[3:4], v5, off
	v_and_or_b32 v5, v9, s18, v8
	v_cmp_ne_u32_e32 vcc, 0, v5
	v_cndmask_b32_e64 v5, 0, 1, vcc
	v_lshrrev_b32_e32 v8, 8, v9
	v_bfe_u32 v11, v9, 20, 11
	v_and_or_b32 v5, v8, s17, v5
	v_sub_u32_e32 v12, 0x3f1, v11
	v_or_b32_e32 v8, 0x1000, v5
	v_med3_i32 v12, v12, 0, 13
	v_lshrrev_b32_e32 v17, v12, v8
	v_lshlrev_b32_e32 v12, v12, v17
	v_mul_f16_sdwa v10, v10, v14 dst_sel:DWORD dst_unused:UNUSED_PAD src0_sel:DWORD src1_sel:WORD_1
	v_cmp_ne_u32_e32 vcc, v12, v8
	v_fma_f16 v10, v14, v13, -v10
	v_cndmask_b32_e64 v8, 0, 1, vcc
	v_add_u32_e32 v12, 0xfffffc10, v11
	v_cvt_f32_f16_e32 v10, v10
	v_or_b32_e32 v8, v17, v8
	v_lshl_or_b32 v11, v12, 12, v5
	v_cmp_gt_i32_e32 vcc, 1, v12
	v_cndmask_b32_e32 v8, v11, v8, vcc
	v_and_b32_e32 v11, 7, v8
	v_cmp_lt_i32_e32 vcc, 5, v11
	v_cmp_eq_u32_e64 s[0:1], 3, v11
	v_cvt_f64_f32_e32 v[10:11], v10
	v_lshrrev_b32_e32 v8, 2, v8
	s_or_b64 vcc, s[0:1], vcc
	v_addc_co_u32_e32 v8, vcc, 0, v8, vcc
	v_mul_f64 v[10:11], v[10:11], s[14:15]
	v_cmp_gt_i32_e32 vcc, 31, v12
	v_cndmask_b32_e32 v8, v6, v8, vcc
	v_cmp_ne_u32_e32 vcc, 0, v5
	v_cndmask_b32_e64 v5, 0, 1, vcc
	v_lshl_or_b32 v5, v5, 9, v6
	v_cmp_eq_u32_e32 vcc, s16, v12
	v_cndmask_b32_e32 v5, v8, v5, vcc
	v_lshrrev_b32_e32 v8, 16, v9
	v_and_or_b32 v14, v8, s10, v5
	v_and_or_b32 v5, v11, s18, v10
	v_cmp_ne_u32_e32 vcc, 0, v5
	v_cndmask_b32_e64 v5, 0, 1, vcc
	v_lshrrev_b32_e32 v8, 8, v11
	v_bfe_u32 v9, v11, 20, 11
	v_and_or_b32 v5, v8, s17, v5
	v_sub_u32_e32 v10, 0x3f1, v9
	v_or_b32_e32 v8, 0x1000, v5
	v_med3_i32 v10, v10, 0, 13
	v_lshrrev_b32_e32 v12, v10, v8
	v_lshlrev_b32_e32 v10, v10, v12
	v_cmp_ne_u32_e32 vcc, v10, v8
	v_cndmask_b32_e64 v8, 0, 1, vcc
	v_add_u32_e32 v10, 0xfffffc10, v9
	v_or_b32_e32 v8, v12, v8
	v_lshl_or_b32 v9, v10, 12, v5
	v_cmp_gt_i32_e32 vcc, 1, v10
	v_cndmask_b32_e32 v8, v9, v8, vcc
	v_and_b32_e32 v9, 7, v8
	v_cmp_lt_i32_e32 vcc, 5, v9
	v_cmp_eq_u32_e64 s[0:1], 3, v9
	v_lshrrev_b32_e32 v8, 2, v8
	s_or_b64 vcc, s[0:1], vcc
	v_addc_co_u32_e32 v8, vcc, 0, v8, vcc
	ds_read2_b32 v[12:13], v7 offset0:27 offset1:30
	v_cmp_gt_i32_e32 vcc, 31, v10
	v_cndmask_b32_e32 v17, v6, v8, vcc
	v_cmp_ne_u32_e32 vcc, 0, v5
	v_mad_u64_u32 v[8:9], s[0:1], s8, v0, 0
	v_cndmask_b32_e64 v5, 0, 1, vcc
	v_lshl_or_b32 v5, v5, 9, v6
	v_cmp_eq_u32_e32 vcc, s16, v10
	v_cndmask_b32_e32 v7, v17, v5, vcc
	s_waitcnt lgkmcnt(0)
	v_lshrrev_b32_e32 v17, 16, v12
	v_mov_b32_e32 v5, v9
	s_waitcnt vmcnt(2)
	v_mul_f16_sdwa v9, v17, v15 dst_sel:DWORD dst_unused:UNUSED_PAD src0_sel:DWORD src1_sel:WORD_1
	v_fma_f16 v9, v12, v15, v9
	v_cvt_f32_f16_e32 v18, v9
	v_mad_u64_u32 v[9:10], s[0:1], s9, v0, v[5:6]
	v_lshrrev_b32_e32 v0, 16, v11
	v_cvt_f64_f32_e32 v[10:11], v18
	v_and_or_b32 v0, v0, s10, v7
	v_lshlrev_b64 v[7:8], 2, v[8:9]
	v_and_b32_e32 v5, 0xffff, v14
	v_mul_f64 v[10:11], v[10:11], s[14:15]
	v_lshl_or_b32 v5, v0, 16, v5
	v_add_co_u32_e32 v0, vcc, v1, v7
	v_addc_co_u32_e32 v1, vcc, v2, v8, vcc
	global_store_dword v[0:1], v5, off
	v_and_or_b32 v0, v11, s18, v10
	v_cmp_ne_u32_e32 vcc, 0, v0
	v_cndmask_b32_e64 v0, 0, 1, vcc
	v_lshrrev_b32_e32 v1, 8, v11
	v_and_or_b32 v2, v1, s17, v0
	v_bfe_u32 v1, v11, 20, 11
	v_sub_u32_e32 v5, 0x3f1, v1
	v_or_b32_e32 v0, 0x1000, v2
	v_med3_i32 v5, v5, 0, 13
	v_lshrrev_b32_e32 v7, v5, v0
	v_lshlrev_b32_e32 v5, v5, v7
	v_cmp_ne_u32_e32 vcc, v5, v0
	v_cndmask_b32_e64 v0, 0, 1, vcc
	v_or_b32_e32 v0, v7, v0
	v_mul_f16_sdwa v7, v12, v15 dst_sel:DWORD dst_unused:UNUSED_PAD src0_sel:DWORD src1_sel:WORD_1
	v_fma_f16 v7, v15, v17, -v7
	v_add_u32_e32 v5, 0xfffffc10, v1
	v_cvt_f32_f16_e32 v7, v7
	v_lshl_or_b32 v1, v5, 12, v2
	v_cmp_gt_i32_e32 vcc, 1, v5
	v_cndmask_b32_e32 v0, v1, v0, vcc
	v_and_b32_e32 v1, 7, v0
	v_cmp_lt_i32_e32 vcc, 5, v1
	v_cmp_eq_u32_e64 s[0:1], 3, v1
	v_lshrrev_b32_e32 v8, 2, v0
	v_cvt_f64_f32_e32 v[0:1], v7
	s_or_b64 vcc, s[0:1], vcc
	v_addc_co_u32_e32 v7, vcc, 0, v8, vcc
	v_mul_f64 v[0:1], v[0:1], s[14:15]
	v_cmp_gt_i32_e32 vcc, 31, v5
	v_cndmask_b32_e32 v7, v6, v7, vcc
	v_cmp_ne_u32_e32 vcc, 0, v2
	v_cndmask_b32_e64 v2, 0, 1, vcc
	v_lshl_or_b32 v2, v2, 9, v6
	v_cmp_eq_u32_e32 vcc, s16, v5
	v_cndmask_b32_e32 v2, v7, v2, vcc
	v_and_or_b32 v0, v1, s18, v0
	v_lshrrev_b32_e32 v5, 16, v11
	v_cmp_ne_u32_e32 vcc, 0, v0
	v_and_or_b32 v5, v5, s10, v2
	v_cndmask_b32_e64 v0, 0, 1, vcc
	v_lshrrev_b32_e32 v2, 8, v1
	v_bfe_u32 v7, v1, 20, 11
	v_and_or_b32 v0, v2, s17, v0
	v_sub_u32_e32 v8, 0x3f1, v7
	v_or_b32_e32 v2, 0x1000, v0
	v_med3_i32 v8, v8, 0, 13
	v_lshrrev_b32_e32 v9, v8, v2
	v_lshlrev_b32_e32 v8, v8, v9
	v_cmp_ne_u32_e32 vcc, v8, v2
	v_cndmask_b32_e64 v2, 0, 1, vcc
	v_or_b32_e32 v2, v9, v2
	v_add_u32_e32 v9, 0xfffffc10, v7
	v_lshl_or_b32 v7, v9, 12, v0
	v_cmp_gt_i32_e32 vcc, 1, v9
	v_cndmask_b32_e32 v2, v7, v2, vcc
	v_and_b32_e32 v7, 7, v2
	v_lshrrev_b32_e32 v10, 16, v13
	v_cmp_lt_i32_e32 vcc, 5, v7
	v_cmp_eq_u32_e64 s[0:1], 3, v7
	s_waitcnt vmcnt(2)
	v_mul_f16_sdwa v7, v10, v16 dst_sel:DWORD dst_unused:UNUSED_PAD src0_sel:DWORD src1_sel:WORD_1
	v_fma_f16 v7, v13, v16, v7
	v_cvt_f32_f16_e32 v7, v7
	v_lshrrev_b32_e32 v2, 2, v2
	s_or_b64 vcc, s[0:1], vcc
	v_addc_co_u32_e32 v2, vcc, 0, v2, vcc
	v_cmp_gt_i32_e32 vcc, 31, v9
	v_cvt_f64_f32_e32 v[7:8], v7
	v_cndmask_b32_e32 v2, v6, v2, vcc
	v_cmp_ne_u32_e32 vcc, 0, v0
	v_cndmask_b32_e64 v0, 0, 1, vcc
	v_lshl_or_b32 v0, v0, 9, v6
	v_cmp_eq_u32_e32 vcc, s16, v9
	v_cndmask_b32_e32 v9, v2, v0, vcc
	v_lshrrev_b32_e32 v11, 16, v1
	v_mul_f64 v[0:1], v[7:8], s[14:15]
	v_mad_u64_u32 v[2:3], s[0:1], s8, 24, v[3:4]
	v_and_or_b32 v4, v11, s10, v9
	v_and_b32_e32 v5, 0xffff, v5
	v_lshl_or_b32 v4, v4, 16, v5
	v_add_u32_e32 v3, s4, v3
	global_store_dword v[2:3], v4, off
	v_and_or_b32 v0, v1, s18, v0
	v_cmp_ne_u32_e32 vcc, 0, v0
	v_cndmask_b32_e64 v0, 0, 1, vcc
	v_lshrrev_b32_e32 v4, 8, v1
	v_bfe_u32 v5, v1, 20, 11
	v_and_or_b32 v0, v4, s17, v0
	v_sub_u32_e32 v7, 0x3f1, v5
	v_or_b32_e32 v4, 0x1000, v0
	v_med3_i32 v7, v7, 0, 13
	v_lshrrev_b32_e32 v8, v7, v4
	v_lshlrev_b32_e32 v7, v7, v8
	v_cmp_ne_u32_e32 vcc, v7, v4
	v_cndmask_b32_e64 v4, 0, 1, vcc
	v_or_b32_e32 v4, v8, v4
	v_mul_f16_sdwa v8, v13, v16 dst_sel:DWORD dst_unused:UNUSED_PAD src0_sel:DWORD src1_sel:WORD_1
	v_fma_f16 v8, v16, v10, -v8
	v_add_u32_e32 v7, 0xfffffc10, v5
	v_cvt_f32_f16_e32 v8, v8
	v_lshl_or_b32 v5, v7, 12, v0
	v_cmp_gt_i32_e32 vcc, 1, v7
	v_cndmask_b32_e32 v4, v5, v4, vcc
	v_and_b32_e32 v5, 7, v4
	v_cmp_lt_i32_e32 vcc, 5, v5
	v_cmp_eq_u32_e64 s[0:1], 3, v5
	v_lshrrev_b32_e32 v9, 2, v4
	v_cvt_f64_f32_e32 v[4:5], v8
	s_or_b64 vcc, s[0:1], vcc
	v_addc_co_u32_e32 v8, vcc, 0, v9, vcc
	v_mul_f64 v[4:5], v[4:5], s[14:15]
	v_cmp_gt_i32_e32 vcc, 31, v7
	v_cndmask_b32_e32 v8, v6, v8, vcc
	v_cmp_ne_u32_e32 vcc, 0, v0
	v_cndmask_b32_e64 v0, 0, 1, vcc
	v_lshl_or_b32 v0, v0, 9, v6
	v_cmp_eq_u32_e32 vcc, s16, v7
	v_cndmask_b32_e32 v0, v8, v0, vcc
	v_lshrrev_b32_e32 v1, 16, v1
	v_and_or_b32 v0, v1, s10, v0
	v_and_or_b32 v1, v5, s18, v4
	v_cmp_ne_u32_e32 vcc, 0, v1
	v_cndmask_b32_e64 v1, 0, 1, vcc
	v_lshrrev_b32_e32 v4, 8, v5
	v_bfe_u32 v7, v5, 20, 11
	v_and_or_b32 v1, v4, s17, v1
	v_sub_u32_e32 v8, 0x3f1, v7
	v_or_b32_e32 v4, 0x1000, v1
	v_med3_i32 v8, v8, 0, 13
	v_lshrrev_b32_e32 v9, v8, v4
	v_lshlrev_b32_e32 v8, v8, v9
	v_cmp_ne_u32_e32 vcc, v8, v4
	v_cndmask_b32_e64 v4, 0, 1, vcc
	v_add_u32_e32 v7, 0xfffffc10, v7
	v_or_b32_e32 v4, v9, v4
	v_lshl_or_b32 v8, v7, 12, v1
	v_cmp_gt_i32_e32 vcc, 1, v7
	v_cndmask_b32_e32 v4, v8, v4, vcc
	v_and_b32_e32 v8, 7, v4
	v_cmp_lt_i32_e32 vcc, 5, v8
	v_cmp_eq_u32_e64 s[0:1], 3, v8
	v_lshrrev_b32_e32 v4, 2, v4
	s_or_b64 vcc, s[0:1], vcc
	v_addc_co_u32_e32 v4, vcc, 0, v4, vcc
	v_cmp_gt_i32_e32 vcc, 31, v7
	v_cndmask_b32_e32 v4, v6, v4, vcc
	v_cmp_ne_u32_e32 vcc, 0, v1
	v_cndmask_b32_e64 v1, 0, 1, vcc
	v_lshl_or_b32 v1, v1, 9, v6
	v_cmp_eq_u32_e32 vcc, s16, v7
	v_cndmask_b32_e32 v1, v4, v1, vcc
	v_lshrrev_b32_e32 v4, 16, v5
	v_and_or_b32 v1, v4, s10, v1
	v_and_b32_e32 v0, 0xffff, v0
	v_lshl_or_b32 v4, v1, 16, v0
	v_mov_b32_e32 v1, s2
	v_add_co_u32_e32 v0, vcc, s3, v2
	v_addc_co_u32_e32 v1, vcc, v3, v1, vcc
	global_store_dword v[0:1], v4, off
.LBB0_15:
	s_endpgm
	.section	.rodata,"a",@progbits
	.p2align	6, 0x0
	.amdhsa_kernel bluestein_single_fwd_len33_dim1_half_op_CI_CI
		.amdhsa_group_segment_fixed_size 3036
		.amdhsa_private_segment_fixed_size 0
		.amdhsa_kernarg_size 104
		.amdhsa_user_sgpr_count 6
		.amdhsa_user_sgpr_private_segment_buffer 1
		.amdhsa_user_sgpr_dispatch_ptr 0
		.amdhsa_user_sgpr_queue_ptr 0
		.amdhsa_user_sgpr_kernarg_segment_ptr 1
		.amdhsa_user_sgpr_dispatch_id 0
		.amdhsa_user_sgpr_flat_scratch_init 0
		.amdhsa_user_sgpr_private_segment_size 0
		.amdhsa_uses_dynamic_stack 0
		.amdhsa_system_sgpr_private_segment_wavefront_offset 0
		.amdhsa_system_sgpr_workgroup_id_x 1
		.amdhsa_system_sgpr_workgroup_id_y 0
		.amdhsa_system_sgpr_workgroup_id_z 0
		.amdhsa_system_sgpr_workgroup_info 0
		.amdhsa_system_vgpr_workitem_id 0
		.amdhsa_next_free_vgpr 97
		.amdhsa_next_free_sgpr 24
		.amdhsa_reserve_vcc 1
		.amdhsa_reserve_flat_scratch 0
		.amdhsa_float_round_mode_32 0
		.amdhsa_float_round_mode_16_64 0
		.amdhsa_float_denorm_mode_32 3
		.amdhsa_float_denorm_mode_16_64 3
		.amdhsa_dx10_clamp 1
		.amdhsa_ieee_mode 1
		.amdhsa_fp16_overflow 0
		.amdhsa_exception_fp_ieee_invalid_op 0
		.amdhsa_exception_fp_denorm_src 0
		.amdhsa_exception_fp_ieee_div_zero 0
		.amdhsa_exception_fp_ieee_overflow 0
		.amdhsa_exception_fp_ieee_underflow 0
		.amdhsa_exception_fp_ieee_inexact 0
		.amdhsa_exception_int_div_zero 0
	.end_amdhsa_kernel
	.text
.Lfunc_end0:
	.size	bluestein_single_fwd_len33_dim1_half_op_CI_CI, .Lfunc_end0-bluestein_single_fwd_len33_dim1_half_op_CI_CI
                                        ; -- End function
	.section	.AMDGPU.csdata,"",@progbits
; Kernel info:
; codeLenInByte = 12944
; NumSgprs: 28
; NumVgprs: 97
; ScratchSize: 0
; MemoryBound: 0
; FloatMode: 240
; IeeeMode: 1
; LDSByteSize: 3036 bytes/workgroup (compile time only)
; SGPRBlocks: 3
; VGPRBlocks: 24
; NumSGPRsForWavesPerEU: 28
; NumVGPRsForWavesPerEU: 97
; Occupancy: 2
; WaveLimiterHint : 1
; COMPUTE_PGM_RSRC2:SCRATCH_EN: 0
; COMPUTE_PGM_RSRC2:USER_SGPR: 6
; COMPUTE_PGM_RSRC2:TRAP_HANDLER: 0
; COMPUTE_PGM_RSRC2:TGID_X_EN: 1
; COMPUTE_PGM_RSRC2:TGID_Y_EN: 0
; COMPUTE_PGM_RSRC2:TGID_Z_EN: 0
; COMPUTE_PGM_RSRC2:TIDIG_COMP_CNT: 0
	.type	__hip_cuid_da674e4c7d44c5f,@object ; @__hip_cuid_da674e4c7d44c5f
	.section	.bss,"aw",@nobits
	.globl	__hip_cuid_da674e4c7d44c5f
__hip_cuid_da674e4c7d44c5f:
	.byte	0                               ; 0x0
	.size	__hip_cuid_da674e4c7d44c5f, 1

	.ident	"AMD clang version 19.0.0git (https://github.com/RadeonOpenCompute/llvm-project roc-6.4.0 25133 c7fe45cf4b819c5991fe208aaa96edf142730f1d)"
	.section	".note.GNU-stack","",@progbits
	.addrsig
	.addrsig_sym __hip_cuid_da674e4c7d44c5f
	.amdgpu_metadata
---
amdhsa.kernels:
  - .args:
      - .actual_access:  read_only
        .address_space:  global
        .offset:         0
        .size:           8
        .value_kind:     global_buffer
      - .actual_access:  read_only
        .address_space:  global
        .offset:         8
        .size:           8
        .value_kind:     global_buffer
      - .actual_access:  read_only
        .address_space:  global
        .offset:         16
        .size:           8
        .value_kind:     global_buffer
      - .actual_access:  read_only
        .address_space:  global
        .offset:         24
        .size:           8
        .value_kind:     global_buffer
      - .actual_access:  read_only
        .address_space:  global
        .offset:         32
        .size:           8
        .value_kind:     global_buffer
      - .offset:         40
        .size:           8
        .value_kind:     by_value
      - .address_space:  global
        .offset:         48
        .size:           8
        .value_kind:     global_buffer
      - .address_space:  global
        .offset:         56
        .size:           8
        .value_kind:     global_buffer
      - .address_space:  global
        .offset:         64
        .size:           8
        .value_kind:     global_buffer
      - .address_space:  global
        .offset:         72
        .size:           8
        .value_kind:     global_buffer
      - .offset:         80
        .size:           4
        .value_kind:     by_value
      - .address_space:  global
        .offset:         88
        .size:           8
        .value_kind:     global_buffer
      - .address_space:  global
        .offset:         96
        .size:           8
        .value_kind:     global_buffer
    .group_segment_fixed_size: 3036
    .kernarg_segment_align: 8
    .kernarg_segment_size: 104
    .language:       OpenCL C
    .language_version:
      - 2
      - 0
    .max_flat_workgroup_size: 253
    .name:           bluestein_single_fwd_len33_dim1_half_op_CI_CI
    .private_segment_fixed_size: 0
    .sgpr_count:     28
    .sgpr_spill_count: 0
    .symbol:         bluestein_single_fwd_len33_dim1_half_op_CI_CI.kd
    .uniform_work_group_size: 1
    .uses_dynamic_stack: false
    .vgpr_count:     97
    .vgpr_spill_count: 0
    .wavefront_size: 64
amdhsa.target:   amdgcn-amd-amdhsa--gfx906
amdhsa.version:
  - 1
  - 2
...

	.end_amdgpu_metadata
